;; amdgpu-corpus repo=ROCm/rocFFT kind=compiled arch=gfx1201 opt=O3
	.text
	.amdgcn_target "amdgcn-amd-amdhsa--gfx1201"
	.amdhsa_code_object_version 6
	.protected	fft_rtc_back_len1224_factors_17_3_4_6_wgs_204_tpt_102_halfLds_dp_ip_CI_unitstride_sbrr_C2R_dirReg ; -- Begin function fft_rtc_back_len1224_factors_17_3_4_6_wgs_204_tpt_102_halfLds_dp_ip_CI_unitstride_sbrr_C2R_dirReg
	.globl	fft_rtc_back_len1224_factors_17_3_4_6_wgs_204_tpt_102_halfLds_dp_ip_CI_unitstride_sbrr_C2R_dirReg
	.p2align	8
	.type	fft_rtc_back_len1224_factors_17_3_4_6_wgs_204_tpt_102_halfLds_dp_ip_CI_unitstride_sbrr_C2R_dirReg,@function
fft_rtc_back_len1224_factors_17_3_4_6_wgs_204_tpt_102_halfLds_dp_ip_CI_unitstride_sbrr_C2R_dirReg: ; @fft_rtc_back_len1224_factors_17_3_4_6_wgs_204_tpt_102_halfLds_dp_ip_CI_unitstride_sbrr_C2R_dirReg
; %bb.0:
	s_clause 0x2
	s_load_b128 s[4:7], s[0:1], 0x0
	s_load_b64 s[8:9], s[0:1], 0x50
	s_load_b64 s[10:11], s[0:1], 0x18
	v_mul_u32_u24_e32 v1, 0x283, v0
	v_mov_b32_e32 v3, 0
	s_delay_alu instid0(VALU_DEP_2) | instskip(SKIP_2) | instid1(VALU_DEP_4)
	v_lshrrev_b32_e32 v9, 16, v1
	v_mov_b32_e32 v1, 0
	v_mov_b32_e32 v2, 0
	;; [unrolled: 1-line block ×3, first 2 shown]
	s_delay_alu instid0(VALU_DEP_4) | instskip(SKIP_2) | instid1(VALU_DEP_1)
	v_lshl_add_u32 v5, ttmp9, 1, v9
	s_wait_kmcnt 0x0
	v_cmp_lt_u64_e64 s2, s[6:7], 2
	s_and_b32 vcc_lo, exec_lo, s2
	s_cbranch_vccnz .LBB0_8
; %bb.1:
	s_load_b64 s[2:3], s[0:1], 0x10
	v_mov_b32_e32 v1, 0
	v_mov_b32_e32 v2, 0
	s_add_nc_u64 s[12:13], s[10:11], 8
	s_mov_b64 s[14:15], 1
	s_wait_kmcnt 0x0
	s_add_nc_u64 s[16:17], s[2:3], 8
	s_mov_b32 s3, 0
.LBB0_2:                                ; =>This Inner Loop Header: Depth=1
	s_load_b64 s[18:19], s[16:17], 0x0
                                        ; implicit-def: $vgpr7_vgpr8
	s_mov_b32 s2, exec_lo
	s_wait_kmcnt 0x0
	v_or_b32_e32 v4, s19, v6
	s_delay_alu instid0(VALU_DEP_1)
	v_cmpx_ne_u64_e32 0, v[3:4]
	s_wait_alu 0xfffe
	s_xor_b32 s20, exec_lo, s2
	s_cbranch_execz .LBB0_4
; %bb.3:                                ;   in Loop: Header=BB0_2 Depth=1
	s_cvt_f32_u32 s2, s18
	s_cvt_f32_u32 s21, s19
	s_sub_nc_u64 s[24:25], 0, s[18:19]
	s_wait_alu 0xfffe
	s_delay_alu instid0(SALU_CYCLE_1) | instskip(SKIP_1) | instid1(SALU_CYCLE_2)
	s_fmamk_f32 s2, s21, 0x4f800000, s2
	s_wait_alu 0xfffe
	v_s_rcp_f32 s2, s2
	s_delay_alu instid0(TRANS32_DEP_1) | instskip(SKIP_1) | instid1(SALU_CYCLE_2)
	s_mul_f32 s2, s2, 0x5f7ffffc
	s_wait_alu 0xfffe
	s_mul_f32 s21, s2, 0x2f800000
	s_wait_alu 0xfffe
	s_delay_alu instid0(SALU_CYCLE_2) | instskip(SKIP_1) | instid1(SALU_CYCLE_2)
	s_trunc_f32 s21, s21
	s_wait_alu 0xfffe
	s_fmamk_f32 s2, s21, 0xcf800000, s2
	s_cvt_u32_f32 s23, s21
	s_wait_alu 0xfffe
	s_delay_alu instid0(SALU_CYCLE_1) | instskip(SKIP_1) | instid1(SALU_CYCLE_2)
	s_cvt_u32_f32 s22, s2
	s_wait_alu 0xfffe
	s_mul_u64 s[26:27], s[24:25], s[22:23]
	s_wait_alu 0xfffe
	s_mul_hi_u32 s29, s22, s27
	s_mul_i32 s28, s22, s27
	s_mul_hi_u32 s2, s22, s26
	s_mul_i32 s30, s23, s26
	s_wait_alu 0xfffe
	s_add_nc_u64 s[28:29], s[2:3], s[28:29]
	s_mul_hi_u32 s21, s23, s26
	s_mul_hi_u32 s31, s23, s27
	s_add_co_u32 s2, s28, s30
	s_wait_alu 0xfffe
	s_add_co_ci_u32 s2, s29, s21
	s_mul_i32 s26, s23, s27
	s_add_co_ci_u32 s27, s31, 0
	s_wait_alu 0xfffe
	s_add_nc_u64 s[26:27], s[2:3], s[26:27]
	s_wait_alu 0xfffe
	v_add_co_u32 v4, s2, s22, s26
	s_delay_alu instid0(VALU_DEP_1) | instskip(SKIP_1) | instid1(VALU_DEP_1)
	s_cmp_lg_u32 s2, 0
	s_add_co_ci_u32 s23, s23, s27
	v_readfirstlane_b32 s22, v4
	s_wait_alu 0xfffe
	s_delay_alu instid0(VALU_DEP_1)
	s_mul_u64 s[24:25], s[24:25], s[22:23]
	s_wait_alu 0xfffe
	s_mul_hi_u32 s27, s22, s25
	s_mul_i32 s26, s22, s25
	s_mul_hi_u32 s2, s22, s24
	s_mul_i32 s28, s23, s24
	s_wait_alu 0xfffe
	s_add_nc_u64 s[26:27], s[2:3], s[26:27]
	s_mul_hi_u32 s21, s23, s24
	s_mul_hi_u32 s22, s23, s25
	s_wait_alu 0xfffe
	s_add_co_u32 s2, s26, s28
	s_add_co_ci_u32 s2, s27, s21
	s_mul_i32 s24, s23, s25
	s_add_co_ci_u32 s25, s22, 0
	s_wait_alu 0xfffe
	s_add_nc_u64 s[24:25], s[2:3], s[24:25]
	s_wait_alu 0xfffe
	v_add_co_u32 v4, s2, v4, s24
	s_delay_alu instid0(VALU_DEP_1) | instskip(SKIP_1) | instid1(VALU_DEP_1)
	s_cmp_lg_u32 s2, 0
	s_add_co_ci_u32 s2, s23, s25
	v_mul_hi_u32 v14, v5, v4
	s_wait_alu 0xfffe
	v_mad_co_u64_u32 v[7:8], null, v5, s2, 0
	v_mad_co_u64_u32 v[10:11], null, v6, v4, 0
	;; [unrolled: 1-line block ×3, first 2 shown]
	s_delay_alu instid0(VALU_DEP_3) | instskip(SKIP_1) | instid1(VALU_DEP_4)
	v_add_co_u32 v4, vcc_lo, v14, v7
	s_wait_alu 0xfffd
	v_add_co_ci_u32_e32 v7, vcc_lo, 0, v8, vcc_lo
	s_delay_alu instid0(VALU_DEP_2) | instskip(SKIP_1) | instid1(VALU_DEP_2)
	v_add_co_u32 v4, vcc_lo, v4, v10
	s_wait_alu 0xfffd
	v_add_co_ci_u32_e32 v4, vcc_lo, v7, v11, vcc_lo
	s_wait_alu 0xfffd
	v_add_co_ci_u32_e32 v7, vcc_lo, 0, v13, vcc_lo
	s_delay_alu instid0(VALU_DEP_2) | instskip(SKIP_1) | instid1(VALU_DEP_2)
	v_add_co_u32 v4, vcc_lo, v4, v12
	s_wait_alu 0xfffd
	v_add_co_ci_u32_e32 v10, vcc_lo, 0, v7, vcc_lo
	s_delay_alu instid0(VALU_DEP_2) | instskip(SKIP_1) | instid1(VALU_DEP_3)
	v_mul_lo_u32 v11, s19, v4
	v_mad_co_u64_u32 v[7:8], null, s18, v4, 0
	v_mul_lo_u32 v12, s18, v10
	s_delay_alu instid0(VALU_DEP_2) | instskip(NEXT) | instid1(VALU_DEP_2)
	v_sub_co_u32 v7, vcc_lo, v5, v7
	v_add3_u32 v8, v8, v12, v11
	s_delay_alu instid0(VALU_DEP_1) | instskip(SKIP_1) | instid1(VALU_DEP_1)
	v_sub_nc_u32_e32 v11, v6, v8
	s_wait_alu 0xfffd
	v_subrev_co_ci_u32_e64 v11, s2, s19, v11, vcc_lo
	v_add_co_u32 v12, s2, v4, 2
	s_wait_alu 0xf1ff
	v_add_co_ci_u32_e64 v13, s2, 0, v10, s2
	v_sub_co_u32 v14, s2, v7, s18
	v_sub_co_ci_u32_e32 v8, vcc_lo, v6, v8, vcc_lo
	s_wait_alu 0xf1ff
	v_subrev_co_ci_u32_e64 v11, s2, 0, v11, s2
	s_delay_alu instid0(VALU_DEP_3) | instskip(NEXT) | instid1(VALU_DEP_3)
	v_cmp_le_u32_e32 vcc_lo, s18, v14
	v_cmp_eq_u32_e64 s2, s19, v8
	s_wait_alu 0xfffd
	v_cndmask_b32_e64 v14, 0, -1, vcc_lo
	v_cmp_le_u32_e32 vcc_lo, s19, v11
	s_wait_alu 0xfffd
	v_cndmask_b32_e64 v15, 0, -1, vcc_lo
	v_cmp_le_u32_e32 vcc_lo, s18, v7
	;; [unrolled: 3-line block ×3, first 2 shown]
	s_wait_alu 0xfffd
	v_cndmask_b32_e64 v16, 0, -1, vcc_lo
	v_cmp_eq_u32_e32 vcc_lo, s19, v11
	s_wait_alu 0xf1ff
	s_delay_alu instid0(VALU_DEP_2)
	v_cndmask_b32_e64 v7, v16, v7, s2
	s_wait_alu 0xfffd
	v_cndmask_b32_e32 v11, v15, v14, vcc_lo
	v_add_co_u32 v14, vcc_lo, v4, 1
	s_wait_alu 0xfffd
	v_add_co_ci_u32_e32 v15, vcc_lo, 0, v10, vcc_lo
	s_delay_alu instid0(VALU_DEP_3) | instskip(SKIP_1) | instid1(VALU_DEP_2)
	v_cmp_ne_u32_e32 vcc_lo, 0, v11
	s_wait_alu 0xfffd
	v_dual_cndmask_b32 v8, v15, v13 :: v_dual_cndmask_b32 v11, v14, v12
	v_cmp_ne_u32_e32 vcc_lo, 0, v7
	s_wait_alu 0xfffd
	s_delay_alu instid0(VALU_DEP_2)
	v_dual_cndmask_b32 v8, v10, v8 :: v_dual_cndmask_b32 v7, v4, v11
.LBB0_4:                                ;   in Loop: Header=BB0_2 Depth=1
	s_wait_alu 0xfffe
	s_and_not1_saveexec_b32 s2, s20
	s_cbranch_execz .LBB0_6
; %bb.5:                                ;   in Loop: Header=BB0_2 Depth=1
	v_cvt_f32_u32_e32 v4, s18
	s_sub_co_i32 s20, 0, s18
	s_delay_alu instid0(VALU_DEP_1) | instskip(NEXT) | instid1(TRANS32_DEP_1)
	v_rcp_iflag_f32_e32 v4, v4
	v_mul_f32_e32 v4, 0x4f7ffffe, v4
	s_delay_alu instid0(VALU_DEP_1) | instskip(SKIP_1) | instid1(VALU_DEP_1)
	v_cvt_u32_f32_e32 v4, v4
	s_wait_alu 0xfffe
	v_mul_lo_u32 v7, s20, v4
	s_delay_alu instid0(VALU_DEP_1) | instskip(NEXT) | instid1(VALU_DEP_1)
	v_mul_hi_u32 v7, v4, v7
	v_add_nc_u32_e32 v4, v4, v7
	s_delay_alu instid0(VALU_DEP_1) | instskip(NEXT) | instid1(VALU_DEP_1)
	v_mul_hi_u32 v4, v5, v4
	v_mul_lo_u32 v7, v4, s18
	v_add_nc_u32_e32 v8, 1, v4
	s_delay_alu instid0(VALU_DEP_2) | instskip(NEXT) | instid1(VALU_DEP_1)
	v_sub_nc_u32_e32 v7, v5, v7
	v_subrev_nc_u32_e32 v10, s18, v7
	v_cmp_le_u32_e32 vcc_lo, s18, v7
	s_wait_alu 0xfffd
	s_delay_alu instid0(VALU_DEP_2) | instskip(NEXT) | instid1(VALU_DEP_1)
	v_dual_cndmask_b32 v7, v7, v10 :: v_dual_cndmask_b32 v4, v4, v8
	v_cmp_le_u32_e32 vcc_lo, s18, v7
	s_delay_alu instid0(VALU_DEP_2) | instskip(SKIP_1) | instid1(VALU_DEP_1)
	v_add_nc_u32_e32 v8, 1, v4
	s_wait_alu 0xfffd
	v_dual_cndmask_b32 v7, v4, v8 :: v_dual_mov_b32 v8, v3
.LBB0_6:                                ;   in Loop: Header=BB0_2 Depth=1
	s_wait_alu 0xfffe
	s_or_b32 exec_lo, exec_lo, s2
	s_load_b64 s[20:21], s[12:13], 0x0
	s_delay_alu instid0(VALU_DEP_1)
	v_mul_lo_u32 v4, v8, s18
	v_mul_lo_u32 v12, v7, s19
	v_mad_co_u64_u32 v[10:11], null, v7, s18, 0
	s_add_nc_u64 s[14:15], s[14:15], 1
	s_add_nc_u64 s[12:13], s[12:13], 8
	s_wait_alu 0xfffe
	v_cmp_ge_u64_e64 s2, s[14:15], s[6:7]
	s_add_nc_u64 s[16:17], s[16:17], 8
	s_delay_alu instid0(VALU_DEP_2) | instskip(NEXT) | instid1(VALU_DEP_3)
	v_add3_u32 v4, v11, v12, v4
	v_sub_co_u32 v5, vcc_lo, v5, v10
	s_wait_alu 0xfffd
	s_delay_alu instid0(VALU_DEP_2) | instskip(SKIP_3) | instid1(VALU_DEP_2)
	v_sub_co_ci_u32_e32 v4, vcc_lo, v6, v4, vcc_lo
	s_and_b32 vcc_lo, exec_lo, s2
	s_wait_kmcnt 0x0
	v_mul_lo_u32 v6, s21, v5
	v_mul_lo_u32 v4, s20, v4
	v_mad_co_u64_u32 v[1:2], null, s20, v5, v[1:2]
	s_delay_alu instid0(VALU_DEP_1)
	v_add3_u32 v2, v6, v2, v4
	s_wait_alu 0xfffe
	s_cbranch_vccnz .LBB0_9
; %bb.7:                                ;   in Loop: Header=BB0_2 Depth=1
	v_dual_mov_b32 v5, v7 :: v_dual_mov_b32 v6, v8
	s_branch .LBB0_2
.LBB0_8:
	v_dual_mov_b32 v8, v6 :: v_dual_mov_b32 v7, v5
.LBB0_9:
	s_lshl_b64 s[2:3], s[6:7], 3
	v_and_b32_e32 v6, 1, v9
	s_wait_alu 0xfffe
	s_add_nc_u64 s[2:3], s[10:11], s[2:3]
	v_mul_hi_u32 v3, 0x2828283, v0
	s_load_b64 s[2:3], s[2:3], 0x0
	s_load_b64 s[0:1], s[0:1], 0x20
	v_cmp_eq_u32_e32 vcc_lo, 1, v6
	s_delay_alu instid0(VALU_DEP_2) | instskip(SKIP_2) | instid1(VALU_DEP_2)
	v_mul_u32_u24_e32 v3, 0x66, v3
	s_wait_alu 0xfffd
	v_cndmask_b32_e64 v10, 0, 0x4c9, vcc_lo
	v_sub_nc_u32_e32 v68, v0, v3
	s_delay_alu instid0(VALU_DEP_2)
	v_lshlrev_b32_e32 v104, 4, v10
	s_wait_kmcnt 0x0
	v_mul_lo_u32 v4, s2, v8
	v_mul_lo_u32 v5, s3, v7
	v_mad_co_u64_u32 v[1:2], null, s2, v7, v[1:2]
	v_cmp_gt_u64_e32 vcc_lo, s[0:1], v[7:8]
	s_delay_alu instid0(VALU_DEP_2) | instskip(NEXT) | instid1(VALU_DEP_1)
	v_add3_u32 v2, v5, v2, v4
	v_lshlrev_b64_e32 v[70:71], 4, v[1:2]
	s_and_saveexec_b32 s1, vcc_lo
	s_cbranch_execz .LBB0_13
; %bb.10:
	v_mov_b32_e32 v69, 0
	s_delay_alu instid0(VALU_DEP_2) | instskip(SKIP_2) | instid1(VALU_DEP_3)
	v_add_co_u32 v0, s0, s8, v70
	s_wait_alu 0xf1ff
	v_add_co_ci_u32_e64 v1, s0, s9, v71, s0
	v_lshlrev_b64_e32 v[2:3], 4, v[68:69]
	s_mov_b32 s2, exec_lo
	s_delay_alu instid0(VALU_DEP_1) | instskip(SKIP_2) | instid1(VALU_DEP_3)
	v_add_co_u32 v7, s0, v0, v2
	v_lshlrev_b32_e32 v2, 4, v68
	s_wait_alu 0xf1ff
	v_add_co_ci_u32_e64 v8, s0, v1, v3, s0
	s_clause 0xb
	global_load_b128 v[3:6], v[7:8], off
	global_load_b128 v[11:14], v[7:8], off offset:1632
	global_load_b128 v[15:18], v[7:8], off offset:3264
	;; [unrolled: 1-line block ×11, first 2 shown]
	v_add3_u32 v2, 0, v104, v2
	s_wait_loadcnt 0xb
	ds_store_b128 v2, v[3:6]
	s_wait_loadcnt 0xa
	ds_store_b128 v2, v[11:14] offset:1632
	s_wait_loadcnt 0x9
	ds_store_b128 v2, v[15:18] offset:3264
	;; [unrolled: 2-line block ×11, first 2 shown]
	v_cmpx_eq_u32_e32 0x65, v68
	s_cbranch_execz .LBB0_12
; %bb.11:
	global_load_b128 v[3:6], v[0:1], off offset:19584
	v_mov_b32_e32 v68, 0x65
	s_wait_loadcnt 0x0
	ds_store_b128 v2, v[3:6] offset:17968
.LBB0_12:
	s_wait_alu 0xfffe
	s_or_b32 exec_lo, exec_lo, s2
.LBB0_13:
	s_wait_alu 0xfffe
	s_or_b32 exec_lo, exec_lo, s1
	v_lshl_add_u32 v105, v10, 4, 0
	v_lshlrev_b32_e32 v0, 4, v68
	global_wb scope:SCOPE_SE
	s_wait_dscnt 0x0
	s_barrier_signal -1
	s_barrier_wait -1
	global_inv scope:SCOPE_SE
	v_add_nc_u32_e32 v106, v105, v0
	v_sub_nc_u32_e32 v11, v105, v0
	s_mov_b32 s1, exec_lo
                                        ; implicit-def: $vgpr4_vgpr5
	ds_load_b64 v[6:7], v106
	ds_load_b64 v[8:9], v11 offset:19584
	s_wait_dscnt 0x0
	v_add_f64_e32 v[0:1], v[6:7], v[8:9]
	v_add_f64_e64 v[2:3], v[6:7], -v[8:9]
	v_cmpx_ne_u32_e32 0, v68
	s_wait_alu 0xfffe
	s_xor_b32 s1, exec_lo, s1
	s_cbranch_execz .LBB0_15
; %bb.14:
	v_mov_b32_e32 v69, 0
	v_add_f64_e32 v[14:15], v[6:7], v[8:9]
	v_add_f64_e64 v[16:17], v[6:7], -v[8:9]
	s_delay_alu instid0(VALU_DEP_3) | instskip(NEXT) | instid1(VALU_DEP_1)
	v_lshlrev_b64_e32 v[0:1], 4, v[68:69]
	v_add_co_u32 v0, s0, s4, v0
	s_wait_alu 0xf1ff
	s_delay_alu instid0(VALU_DEP_2)
	v_add_co_ci_u32_e64 v1, s0, s5, v1, s0
	global_load_b128 v[2:5], v[0:1], off offset:19312
	ds_load_b64 v[0:1], v11 offset:19592
	ds_load_b64 v[12:13], v106 offset:8
	s_wait_dscnt 0x0
	v_add_f64_e32 v[6:7], v[0:1], v[12:13]
	v_add_f64_e64 v[0:1], v[12:13], -v[0:1]
	s_wait_loadcnt 0x0
	v_fma_f64 v[8:9], v[16:17], v[4:5], v[14:15]
	v_fma_f64 v[12:13], -v[16:17], v[4:5], v[14:15]
	s_delay_alu instid0(VALU_DEP_3) | instskip(SKIP_1) | instid1(VALU_DEP_4)
	v_fma_f64 v[14:15], v[6:7], v[4:5], -v[0:1]
	v_fma_f64 v[4:5], v[6:7], v[4:5], v[0:1]
	v_fma_f64 v[0:1], -v[6:7], v[2:3], v[8:9]
	s_delay_alu instid0(VALU_DEP_4) | instskip(NEXT) | instid1(VALU_DEP_4)
	v_fma_f64 v[6:7], v[6:7], v[2:3], v[12:13]
	v_fma_f64 v[8:9], v[16:17], v[2:3], v[14:15]
	s_delay_alu instid0(VALU_DEP_4)
	v_fma_f64 v[2:3], v[16:17], v[2:3], v[4:5]
	v_dual_mov_b32 v4, v68 :: v_dual_mov_b32 v5, v69
	ds_store_b128 v11, v[6:9] offset:19584
.LBB0_15:
	s_wait_alu 0xfffe
	s_and_not1_saveexec_b32 s0, s1
	s_cbranch_execz .LBB0_17
; %bb.16:
	ds_load_b128 v[4:7], v105 offset:9792
	s_wait_dscnt 0x0
	v_add_f64_e32 v[12:13], v[4:5], v[4:5]
	v_mul_f64_e32 v[14:15], -2.0, v[6:7]
	v_mov_b32_e32 v4, 0
	v_mov_b32_e32 v5, 0
	ds_store_b128 v105, v[12:15] offset:9792
.LBB0_17:
	s_wait_alu 0xfffe
	s_or_b32 exec_lo, exec_lo, s0
	v_lshlrev_b64_e32 v[4:5], 4, v[4:5]
	s_add_nc_u64 s[0:1], s[4:5], 0x4b70
	v_lshl_add_u32 v107, v68, 4, 0
	s_mov_b32 s33, exec_lo
	s_wait_alu 0xfffe
	s_delay_alu instid0(VALU_DEP_2)
	v_add_co_u32 v24, s0, s0, v4
	s_wait_alu 0xf1ff
	v_add_co_ci_u32_e64 v25, s0, s1, v5, s0
	v_lshl_add_u32 v69, v10, 4, v107
	s_clause 0x1
	global_load_b128 v[4:7], v[24:25], off offset:1632
	global_load_b128 v[12:15], v[24:25], off offset:3264
	ds_store_b128 v106, v[0:3]
	ds_load_b128 v[0:3], v106 offset:1632
	ds_load_b128 v[16:19], v11 offset:17952
	global_load_b128 v[20:23], v[24:25], off offset:4896
	s_wait_dscnt 0x0
	v_add_f64_e32 v[8:9], v[0:1], v[16:17]
	v_add_f64_e32 v[26:27], v[18:19], v[2:3]
	v_add_f64_e64 v[16:17], v[0:1], -v[16:17]
	v_add_f64_e64 v[0:1], v[2:3], -v[18:19]
	s_wait_loadcnt 0x2
	s_delay_alu instid0(VALU_DEP_2) | instskip(NEXT) | instid1(VALU_DEP_2)
	v_fma_f64 v[2:3], v[16:17], v[6:7], v[8:9]
	v_fma_f64 v[18:19], v[26:27], v[6:7], v[0:1]
	v_fma_f64 v[8:9], -v[16:17], v[6:7], v[8:9]
	v_fma_f64 v[28:29], v[26:27], v[6:7], -v[0:1]
	s_delay_alu instid0(VALU_DEP_4) | instskip(NEXT) | instid1(VALU_DEP_4)
	v_fma_f64 v[0:1], -v[26:27], v[4:5], v[2:3]
	v_fma_f64 v[2:3], v[16:17], v[4:5], v[18:19]
	s_delay_alu instid0(VALU_DEP_4) | instskip(NEXT) | instid1(VALU_DEP_4)
	v_fma_f64 v[6:7], v[26:27], v[4:5], v[8:9]
	v_fma_f64 v[8:9], v[16:17], v[4:5], v[28:29]
	ds_store_b128 v106, v[0:3] offset:1632
	ds_store_b128 v11, v[6:9] offset:17952
	ds_load_b128 v[0:3], v106 offset:3264
	ds_load_b128 v[4:7], v11 offset:16320
	global_load_b128 v[16:19], v[24:25], off offset:6528
	s_wait_dscnt 0x0
	v_add_f64_e32 v[8:9], v[0:1], v[4:5]
	v_add_f64_e32 v[26:27], v[6:7], v[2:3]
	v_add_f64_e64 v[28:29], v[0:1], -v[4:5]
	v_add_f64_e64 v[0:1], v[2:3], -v[6:7]
	s_wait_loadcnt 0x2
	s_delay_alu instid0(VALU_DEP_2) | instskip(NEXT) | instid1(VALU_DEP_2)
	v_fma_f64 v[2:3], v[28:29], v[14:15], v[8:9]
	v_fma_f64 v[4:5], v[26:27], v[14:15], v[0:1]
	v_fma_f64 v[6:7], -v[28:29], v[14:15], v[8:9]
	v_fma_f64 v[8:9], v[26:27], v[14:15], -v[0:1]
	s_delay_alu instid0(VALU_DEP_4) | instskip(NEXT) | instid1(VALU_DEP_4)
	v_fma_f64 v[0:1], -v[26:27], v[12:13], v[2:3]
	v_fma_f64 v[2:3], v[28:29], v[12:13], v[4:5]
	s_delay_alu instid0(VALU_DEP_4) | instskip(NEXT) | instid1(VALU_DEP_4)
	v_fma_f64 v[4:5], v[26:27], v[12:13], v[6:7]
	v_fma_f64 v[6:7], v[28:29], v[12:13], v[8:9]
	ds_store_b128 v106, v[0:3] offset:3264
	ds_store_b128 v11, v[4:7] offset:16320
	;; [unrolled: 22-line block ×3, first 2 shown]
	ds_load_b128 v[0:3], v106 offset:6528
	ds_load_b128 v[4:7], v11 offset:13056
	s_wait_dscnt 0x0
	v_add_f64_e32 v[8:9], v[0:1], v[4:5]
	v_add_f64_e32 v[20:21], v[6:7], v[2:3]
	v_add_f64_e64 v[22:23], v[0:1], -v[4:5]
	v_add_f64_e64 v[0:1], v[2:3], -v[6:7]
	s_wait_loadcnt 0x1
	s_delay_alu instid0(VALU_DEP_2) | instskip(NEXT) | instid1(VALU_DEP_2)
	v_fma_f64 v[2:3], v[22:23], v[18:19], v[8:9]
	v_fma_f64 v[4:5], v[20:21], v[18:19], v[0:1]
	v_fma_f64 v[6:7], -v[22:23], v[18:19], v[8:9]
	v_fma_f64 v[8:9], v[20:21], v[18:19], -v[0:1]
	s_delay_alu instid0(VALU_DEP_4) | instskip(NEXT) | instid1(VALU_DEP_4)
	v_fma_f64 v[0:1], -v[20:21], v[16:17], v[2:3]
	v_fma_f64 v[2:3], v[22:23], v[16:17], v[4:5]
	s_delay_alu instid0(VALU_DEP_4) | instskip(NEXT) | instid1(VALU_DEP_4)
	v_fma_f64 v[4:5], v[20:21], v[16:17], v[6:7]
	v_fma_f64 v[6:7], v[22:23], v[16:17], v[8:9]
	ds_store_b128 v106, v[0:3] offset:6528
	ds_store_b128 v11, v[4:7] offset:13056
	ds_load_b128 v[0:3], v106 offset:8160
	ds_load_b128 v[4:7], v11 offset:11424
	s_wait_dscnt 0x0
	v_add_f64_e32 v[8:9], v[0:1], v[4:5]
	v_add_f64_e32 v[16:17], v[6:7], v[2:3]
	v_add_f64_e64 v[18:19], v[0:1], -v[4:5]
	v_add_f64_e64 v[0:1], v[2:3], -v[6:7]
	s_wait_loadcnt 0x0
	s_delay_alu instid0(VALU_DEP_2) | instskip(NEXT) | instid1(VALU_DEP_2)
	v_fma_f64 v[2:3], v[18:19], v[14:15], v[8:9]
	v_fma_f64 v[4:5], v[16:17], v[14:15], v[0:1]
	v_fma_f64 v[6:7], -v[18:19], v[14:15], v[8:9]
	v_fma_f64 v[8:9], v[16:17], v[14:15], -v[0:1]
	s_delay_alu instid0(VALU_DEP_4) | instskip(NEXT) | instid1(VALU_DEP_4)
	v_fma_f64 v[0:1], -v[16:17], v[12:13], v[2:3]
	v_fma_f64 v[2:3], v[18:19], v[12:13], v[4:5]
	s_delay_alu instid0(VALU_DEP_4) | instskip(NEXT) | instid1(VALU_DEP_4)
	v_fma_f64 v[4:5], v[16:17], v[12:13], v[6:7]
	v_fma_f64 v[6:7], v[18:19], v[12:13], v[8:9]
	ds_store_b128 v106, v[0:3] offset:8160
	ds_store_b128 v11, v[4:7] offset:11424
	global_wb scope:SCOPE_SE
	s_wait_dscnt 0x0
	s_barrier_signal -1
	s_barrier_wait -1
	global_inv scope:SCOPE_SE
	global_wb scope:SCOPE_SE
	s_barrier_signal -1
	s_barrier_wait -1
	global_inv scope:SCOPE_SE
	ds_load_b128 v[8:11], v106
	ds_load_b128 v[36:39], v69 offset:1152
	ds_load_b128 v[40:43], v69 offset:2304
	;; [unrolled: 1-line block ×16, first 2 shown]
	global_wb scope:SCOPE_SE
	s_wait_dscnt 0x0
	s_barrier_signal -1
	s_barrier_wait -1
	global_inv scope:SCOPE_SE
	v_cmpx_gt_u32_e32 0x48, v68
	s_cbranch_execz .LBB0_19
; %bb.18:
	v_add_f64_e32 v[72:73], v[10:11], v[38:39]
	v_add_f64_e32 v[74:75], v[8:9], v[36:37]
	v_add_f64_e64 v[78:79], v[56:57], -v[32:33]
	v_add_f64_e64 v[80:81], v[58:59], -v[34:35]
	;; [unrolled: 1-line block ×3, first 2 shown]
	s_mov_b32 s28, 0x7c9e640b
	s_mov_b32 s22, 0x6c9a05f6
	;; [unrolled: 1-line block ×10, first 2 shown]
	s_wait_alu 0xfffe
	s_mov_b32 s46, s18
	s_mov_b32 s40, s28
	v_add_f64_e64 v[84:85], v[64:65], -v[28:29]
	v_add_f64_e32 v[76:77], v[66:67], v[30:31]
	v_add_f64_e32 v[36:37], v[36:37], v[0:1]
	s_mov_b32 s42, 0xeb564b22
	s_mov_b32 s38, 0x923c349f
	;; [unrolled: 1-line block ×18, first 2 shown]
	v_add_f64_e32 v[72:73], v[72:73], v[42:43]
	v_add_f64_e32 v[74:75], v[74:75], v[40:41]
	s_mov_b32 s45, 0x3feec746
	s_mov_b32 s34, s42
	v_mul_f64_e32 v[112:113], s[22:23], v[102:103]
	v_mul_f64_e32 v[120:121], s[46:47], v[102:103]
	s_wait_alu 0xfffe
	s_mov_b32 s36, s20
	s_mov_b32 s44, s38
	v_add_f64_e64 v[88:89], v[60:61], -v[24:25]
	v_add_f64_e32 v[82:83], v[62:63], v[26:27]
	v_add_f64_e64 v[98:99], v[44:45], -v[12:13]
	v_add_f64_e32 v[96:97], v[46:47], v[14:15]
	v_mul_f64_e32 v[114:115], s[38:39], v[102:103]
	v_mul_f64_e32 v[116:117], s[34:35], v[102:103]
	;; [unrolled: 1-line block ×3, first 2 shown]
	s_mov_b32 s26, 0x3259b75e
	s_mov_b32 s30, 0xc61f0d01
	;; [unrolled: 1-line block ×12, first 2 shown]
	v_add_f64_e64 v[92:93], v[52:53], -v[20:21]
	v_add_f64_e32 v[86:87], v[54:55], v[22:23]
	v_add_f64_e64 v[94:95], v[48:49], -v[16:17]
	v_add_f64_e32 v[90:91], v[50:51], v[18:19]
	s_mov_b32 s51, 0x3fe9895b
	s_mov_b32 s50, s22
	v_add_f64_e32 v[72:73], v[72:73], v[46:47]
	v_add_f64_e32 v[74:75], v[74:75], v[44:45]
	v_add_f64_e64 v[46:47], v[46:47], -v[14:15]
	v_add_f64_e32 v[44:45], v[44:45], v[12:13]
	v_mul_f64_e32 v[140:141], s[24:25], v[98:99]
	v_mul_f64_e32 v[148:149], s[34:35], v[98:99]
	;; [unrolled: 1-line block ×7, first 2 shown]
	v_add_f64_e32 v[72:73], v[72:73], v[50:51]
	v_add_f64_e32 v[74:75], v[74:75], v[48:49]
	v_add_f64_e64 v[50:51], v[50:51], -v[18:19]
	v_mul_f64_e32 v[150:151], s[34:35], v[46:47]
	v_mul_f64_e32 v[154:155], s[36:37], v[46:47]
	v_add_f64_e32 v[48:49], v[48:49], v[16:17]
	v_mul_f64_e32 v[142:143], s[24:25], v[46:47]
	v_mul_f64_e32 v[162:163], s[18:19], v[46:47]
	;; [unrolled: 1-line block ×6, first 2 shown]
	v_fma_f64 v[218:219], v[96:97], s[2:3], v[140:141]
	v_fma_f64 v[140:141], v[96:97], s[2:3], -v[140:141]
	s_wait_alu 0xfffe
	v_fma_f64 v[224:225], v[96:97], s[26:27], v[148:149]
	v_fma_f64 v[148:149], v[96:97], s[26:27], -v[148:149]
	v_fma_f64 v[232:233], v[96:97], s[10:11], -v[160:161]
	;; [unrolled: 1-line block ×5, first 2 shown]
	v_fma_f64 v[160:161], v[96:97], s[10:11], v[160:161]
	v_fma_f64 v[168:169], v[96:97], s[30:31], v[168:169]
	;; [unrolled: 1-line block ×4, first 2 shown]
	v_add_f64_e32 v[72:73], v[72:73], v[54:55]
	v_add_f64_e32 v[74:75], v[74:75], v[52:53]
	;; [unrolled: 1-line block ×3, first 2 shown]
	v_add_f64_e64 v[54:55], v[54:55], -v[22:23]
	v_fma_f64 v[254:255], v[44:45], s[26:27], -v[150:151]
	v_fma_f64 v[150:151], v[44:45], s[26:27], v[150:151]
	v_add_f64_e32 v[72:73], v[72:73], v[62:63]
	v_add_f64_e32 v[74:75], v[74:75], v[60:61]
	v_add_f64_e32 v[60:61], v[60:61], v[24:25]
	v_add_f64_e64 v[62:63], v[62:63], -v[26:27]
	s_delay_alu instid0(VALU_DEP_4) | instskip(NEXT) | instid1(VALU_DEP_4)
	v_add_f64_e32 v[100:101], v[72:73], v[66:67]
	v_add_f64_e32 v[108:109], v[74:75], v[64:65]
	;; [unrolled: 1-line block ×5, first 2 shown]
	v_add_f64_e64 v[66:67], v[66:67], -v[30:31]
	v_add_f64_e32 v[110:111], v[100:101], v[58:59]
	v_add_f64_e32 v[108:109], v[108:109], v[56:57]
	;; [unrolled: 1-line block ×3, first 2 shown]
	v_add_f64_e64 v[38:39], v[38:39], -v[2:3]
	v_add_f64_e64 v[100:101], v[40:41], -v[4:5]
	v_add_f64_e32 v[56:57], v[42:43], v[6:7]
	v_add_f64_e64 v[42:43], v[42:43], -v[6:7]
	v_add_f64_e32 v[40:41], v[40:41], v[4:5]
	v_add_f64_e32 v[34:35], v[110:111], v[34:35]
	;; [unrolled: 1-line block ×3, first 2 shown]
	v_mul_f64_e32 v[110:111], s[24:25], v[102:103]
	v_mul_f64_e32 v[124:125], s[24:25], v[38:39]
	;; [unrolled: 1-line block ×16, first 2 shown]
	v_fma_f64 v[194:195], v[58:59], s[12:13], v[112:113]
	v_mul_f64_e32 v[136:137], s[20:21], v[100:101]
	v_mul_f64_e32 v[138:139], s[20:21], v[42:43]
	;; [unrolled: 1-line block ×9, first 2 shown]
	v_fma_f64 v[112:113], v[58:59], s[12:13], -v[112:113]
	v_fma_f64 v[196:197], v[58:59], s[30:31], v[114:115]
	v_fma_f64 v[114:115], v[58:59], s[30:31], -v[114:115]
	v_fma_f64 v[198:199], v[58:59], s[26:27], v[116:117]
	;; [unrolled: 2-line block ×3, first 2 shown]
	v_fma_f64 v[118:119], v[58:59], s[16:17], -v[118:119]
	v_add_f64_e32 v[30:31], v[34:35], v[30:31]
	v_add_f64_e32 v[28:29], v[32:33], v[28:29]
	v_mul_f64_e32 v[32:33], s[44:45], v[42:43]
	v_fma_f64 v[192:193], v[58:59], s[2:3], v[110:111]
	v_fma_f64 v[110:111], v[58:59], s[2:3], -v[110:111]
	v_fma_f64 v[202:203], v[36:37], s[2:3], -v[124:125]
	v_fma_f64 v[124:125], v[36:37], s[2:3], v[124:125]
	v_fma_f64 v[204:205], v[36:37], s[12:13], -v[126:127]
	v_fma_f64 v[210:211], v[36:37], s[16:17], -v[132:133]
	v_fma_f64 v[132:133], v[36:37], s[16:17], v[132:133]
	v_mul_f64_e32 v[34:35], s[36:37], v[98:99]
	v_mul_f64_e32 v[98:99], s[40:41], v[98:99]
	;; [unrolled: 1-line block ×3, first 2 shown]
	v_fma_f64 v[190:191], v[58:59], s[0:1], v[108:109]
	v_fma_f64 v[108:109], v[58:59], s[0:1], -v[108:109]
	v_fma_f64 v[126:127], v[36:37], s[12:13], v[126:127]
	v_fma_f64 v[206:207], v[36:37], s[30:31], -v[128:129]
	;; [unrolled: 2-line block ×6, first 2 shown]
	v_fma_f64 v[144:145], v[56:57], s[16:17], -v[144:145]
	v_fma_f64 v[146:147], v[40:41], s[16:17], v[146:147]
	v_fma_f64 v[226:227], v[56:57], s[30:31], v[152:153]
	;; [unrolled: 1-line block ×3, first 2 shown]
	v_fma_f64 v[246:247], v[56:57], s[26:27], -v[176:177]
	v_add_f64_e32 v[194:195], v[10:11], v[194:195]
	v_fma_f64 v[216:217], v[40:41], s[6:7], -v[138:139]
	v_fma_f64 v[152:153], v[56:57], s[30:31], -v[152:153]
	;; [unrolled: 1-line block ×5, first 2 shown]
	v_fma_f64 v[164:165], v[56:57], s[0:1], v[164:165]
	v_fma_f64 v[170:171], v[56:57], s[12:13], v[170:171]
	v_add_f64_e32 v[26:27], v[30:31], v[26:27]
	v_add_f64_e32 v[24:25], v[28:29], v[24:25]
	v_fma_f64 v[30:31], v[58:59], s[10:11], -v[120:121]
	v_fma_f64 v[28:29], v[58:59], s[10:11], v[120:121]
	v_fma_f64 v[120:121], v[58:59], s[6:7], v[102:103]
	v_fma_f64 v[58:59], v[58:59], s[6:7], -v[102:103]
	v_fma_f64 v[102:103], v[36:37], s[0:1], -v[122:123]
	v_fma_f64 v[122:123], v[36:37], s[0:1], v[122:123]
	v_fma_f64 v[36:37], v[36:37], s[6:7], v[38:39]
	v_fma_f64 v[228:229], v[40:41], s[30:31], -v[32:33]
	v_add_f64_e32 v[192:193], v[10:11], v[192:193]
	v_add_f64_e32 v[202:203], v[8:9], v[202:203]
	;; [unrolled: 1-line block ×6, first 2 shown]
	v_fma_f64 v[38:39], v[56:57], s[6:7], v[136:137]
	v_fma_f64 v[136:137], v[56:57], s[6:7], -v[136:137]
	v_fma_f64 v[230:231], v[96:97], s[6:7], v[34:35]
	v_fma_f64 v[176:177], v[56:57], s[26:27], v[176:177]
	v_add_f64_e32 v[190:191], v[10:11], v[190:191]
	v_add_f64_e32 v[108:109], v[10:11], v[108:109]
	;; [unrolled: 1-line block ×21, first 2 shown]
	v_fma_f64 v[24:25], v[40:41], s[30:31], v[32:33]
	v_fma_f64 v[26:27], v[96:97], s[6:7], -v[34:35]
	v_fma_f64 v[32:33], v[56:57], s[2:3], -v[156:157]
	v_fma_f64 v[34:35], v[40:41], s[2:3], v[158:159]
	v_fma_f64 v[156:157], v[56:57], s[2:3], v[156:157]
	;; [unrolled: 1-line block ×3, first 2 shown]
	v_fma_f64 v[100:101], v[96:97], s[16:17], -v[98:99]
	v_fma_f64 v[96:97], v[96:97], s[16:17], v[98:99]
	v_fma_f64 v[98:99], v[40:41], s[10:11], v[42:43]
	v_add_f64_e32 v[102:103], v[8:9], v[102:103]
	v_add_f64_e32 v[122:123], v[8:9], v[122:123]
	;; [unrolled: 1-line block ×11, first 2 shown]
	v_mul_f64_e32 v[226:227], s[50:51], v[94:95]
	v_add_f64_e32 v[204:205], v[228:229], v[204:205]
	v_mul_f64_e32 v[228:229], s[50:51], v[50:51]
	v_add_f64_e32 v[132:133], v[242:243], v[132:133]
	v_mul_f64_e32 v[242:243], s[24:25], v[94:95]
	v_fma_f64 v[138:139], v[40:41], s[6:7], v[138:139]
	v_fma_f64 v[236:237], v[40:41], s[0:1], v[166:167]
	;; [unrolled: 1-line block ×3, first 2 shown]
	v_fma_f64 v[158:159], v[40:41], s[2:3], -v[158:159]
	v_fma_f64 v[166:167], v[40:41], s[0:1], -v[166:167]
	;; [unrolled: 1-line block ×6, first 2 shown]
	v_fma_f64 v[142:143], v[44:45], s[2:3], v[142:143]
	v_add_f64_e32 v[18:19], v[22:23], v[18:19]
	v_add_f64_e32 v[16:17], v[20:21], v[16:17]
	v_fma_f64 v[20:21], v[44:45], s[6:7], -v[154:155]
	v_add_f64_e32 v[30:31], v[246:247], v[30:31]
	v_mul_f64_e32 v[246:247], s[24:25], v[50:51]
	v_fma_f64 v[22:23], v[44:45], s[6:7], v[154:155]
	v_fma_f64 v[154:155], v[44:45], s[10:11], v[162:163]
	v_fma_f64 v[162:163], v[44:45], s[10:11], -v[162:163]
	v_fma_f64 v[36:37], v[44:45], s[30:31], v[182:183]
	v_fma_f64 v[58:59], v[44:45], s[30:31], -v[182:183]
	;; [unrolled: 2-line block ×3, first 2 shown]
	v_add_f64_e32 v[38:39], v[38:39], v[190:191]
	v_add_f64_e32 v[102:103], v[216:217], v[102:103]
	;; [unrolled: 1-line block ×4, first 2 shown]
	v_mul_f64_e32 v[152:153], s[36:37], v[92:93]
	v_add_f64_e32 v[24:25], v[24:25], v[126:127]
	v_mul_f64_e32 v[126:127], s[36:37], v[54:55]
	v_add_f64_e32 v[34:35], v[34:35], v[128:129]
	v_add_f64_e32 v[118:119], v[240:241], v[118:119]
	;; [unrolled: 1-line block ×3, first 2 shown]
	v_mul_f64_e32 v[252:253], s[42:43], v[92:93]
	v_add_f64_e32 v[8:9], v[98:99], v[8:9]
	v_mul_f64_e32 v[98:99], s[42:43], v[54:55]
	v_add_f64_e32 v[164:165], v[164:165], v[198:199]
	;; [unrolled: 2-line block ×3, first 2 shown]
	v_fma_f64 v[224:225], v[90:91], s[12:13], v[226:227]
	v_add_f64_e32 v[202:203], v[254:255], v[202:203]
	v_fma_f64 v[254:255], v[48:49], s[12:13], -v[228:229]
	v_add_f64_e32 v[110:111], v[148:149], v[110:111]
	v_fma_f64 v[226:227], v[90:91], s[12:13], -v[226:227]
	v_add_f64_e32 v[124:125], v[150:151], v[124:125]
	v_fma_f64 v[228:229], v[48:49], s[12:13], v[228:229]
	v_add_f64_e32 v[194:195], v[230:231], v[194:195]
	v_fma_f64 v[230:231], v[90:91], s[2:3], v[242:243]
	v_add_f64_e32 v[122:123], v[138:139], v[122:123]
	v_add_f64_e32 v[14:15], v[18:19], v[14:15]
	;; [unrolled: 1-line block ×3, first 2 shown]
	v_fma_f64 v[16:17], v[44:45], s[12:13], v[186:187]
	v_fma_f64 v[18:19], v[44:45], s[12:13], -v[186:187]
	v_fma_f64 v[186:187], v[44:45], s[16:17], v[46:47]
	v_fma_f64 v[44:45], v[44:45], s[16:17], -v[46:47]
	v_mul_f64_e32 v[46:47], s[18:19], v[50:51]
	v_add_f64_e32 v[20:21], v[20:21], v[204:205]
	v_fma_f64 v[204:205], v[48:49], s[2:3], -v[246:247]
	v_mul_f64_e32 v[190:191], s[22:23], v[92:93]
	v_mul_f64_e32 v[216:217], s[22:23], v[54:55]
	;; [unrolled: 1-line block ×3, first 2 shown]
	v_add_f64_e32 v[130:131], v[236:237], v[130:131]
	v_add_f64_e32 v[156:157], v[156:157], v[196:197]
	v_mul_f64_e32 v[196:197], s[46:47], v[88:89]
	v_add_f64_e32 v[166:167], v[166:167], v[208:209]
	v_mul_f64_e32 v[208:209], s[46:47], v[62:63]
	v_add_f64_e32 v[38:39], v[218:219], v[38:39]
	v_fma_f64 v[218:219], v[90:91], s[10:11], v[188:189]
	v_add_f64_e32 v[42:43], v[42:43], v[102:103]
	v_add_f64_e32 v[108:109], v[140:141], v[108:109]
	v_fma_f64 v[188:189], v[90:91], s[10:11], -v[188:189]
	v_add_f64_e32 v[178:179], v[178:179], v[212:213]
	v_mul_f64_e32 v[212:213], s[14:15], v[54:55]
	v_add_f64_e32 v[26:27], v[26:27], v[112:113]
	v_fma_f64 v[242:243], v[90:91], s[2:3], -v[242:243]
	v_add_f64_e32 v[22:23], v[22:23], v[24:25]
	v_fma_f64 v[246:247], v[48:49], s[2:3], v[246:247]
	v_add_f64_e32 v[34:35], v[154:155], v[34:35]
	v_fma_f64 v[154:155], v[48:49], s[16:17], v[198:199]
	v_add_f64_e32 v[118:119], v[244:245], v[118:119]
	v_fma_f64 v[244:245], v[86:87], s[6:7], v[152:153]
	v_add_f64_e32 v[192:193], v[224:225], v[192:193]
	v_fma_f64 v[224:225], v[52:53], s[6:7], -v[126:127]
	v_add_f64_e32 v[202:203], v[254:255], v[202:203]
	v_add_f64_e32 v[110:111], v[226:227], v[110:111]
	v_fma_f64 v[152:153], v[86:87], s[6:7], -v[152:153]
	v_add_f64_e32 v[124:125], v[228:229], v[124:125]
	v_fma_f64 v[126:127], v[52:53], s[6:7], v[126:127]
	v_add_f64_e32 v[194:195], v[230:231], v[194:195]
	v_fma_f64 v[230:231], v[86:87], s[26:27], v[252:253]
	v_add_f64_e32 v[122:123], v[142:143], v[122:123]
	v_add_f64_e32 v[32:33], v[32:33], v[114:115]
	;; [unrolled: 1-line block ×3, first 2 shown]
	v_fma_f64 v[102:103], v[48:49], s[10:11], -v[46:47]
	v_fma_f64 v[46:47], v[48:49], s[10:11], v[46:47]
	v_add_f64_e32 v[20:21], v[204:205], v[20:21]
	v_fma_f64 v[204:205], v[52:53], s[26:27], -v[98:99]
	v_add_f64_e32 v[158:159], v[158:159], v[206:207]
	v_mul_f64_e32 v[206:207], s[40:41], v[94:95]
	v_add_f64_e32 v[40:41], v[40:41], v[214:215]
	v_mul_f64_e32 v[214:215], s[42:43], v[62:63]
	v_mul_f64_e32 v[112:113], s[20:21], v[94:95]
	;; [unrolled: 1-line block ×3, first 2 shown]
	v_add_f64_e32 v[36:37], v[36:37], v[130:131]
	v_mul_f64_e32 v[130:131], s[44:45], v[94:95]
	v_add_f64_e32 v[38:39], v[218:219], v[38:39]
	v_fma_f64 v[218:219], v[86:87], s[12:13], v[190:191]
	v_fma_f64 v[190:191], v[86:87], s[12:13], -v[190:191]
	v_add_f64_e32 v[108:109], v[188:189], v[108:109]
	v_mul_f64_e32 v[254:255], s[44:45], v[50:51]
	v_fma_f64 v[252:253], v[86:87], s[26:27], -v[252:253]
	v_add_f64_e32 v[132:133], v[182:183], v[132:133]
	v_add_f64_e32 v[26:27], v[242:243], v[26:27]
	v_mul_f64_e32 v[242:243], s[14:15], v[94:95]
	v_add_f64_e32 v[22:23], v[246:247], v[22:23]
	v_mul_f64_e32 v[246:247], s[14:15], v[50:51]
	v_add_f64_e32 v[34:35], v[154:155], v[34:35]
	v_fma_f64 v[154:155], v[52:53], s[0:1], v[212:213]
	v_mul_f64_e32 v[94:95], s[34:35], v[94:95]
	v_mul_f64_e32 v[50:51], s[34:35], v[50:51]
	v_fma_f64 v[182:183], v[60:61], s[10:11], -v[208:209]
	v_add_f64_e32 v[202:203], v[224:225], v[202:203]
	v_fma_f64 v[224:225], v[60:61], s[0:1], -v[128:129]
	v_fma_f64 v[128:129], v[60:61], s[0:1], v[128:129]
	v_add_f64_e32 v[110:111], v[152:153], v[110:111]
	v_fma_f64 v[152:153], v[82:83], s[10:11], v[196:197]
	v_add_f64_e32 v[124:125], v[126:127], v[124:125]
	v_add_f64_e32 v[194:195], v[230:231], v[194:195]
	v_mul_f64_e32 v[136:137], s[28:29], v[88:89]
	v_mul_f64_e32 v[138:139], s[28:29], v[62:63]
	;; [unrolled: 1-line block ×3, first 2 shown]
	v_add_f64_e32 v[42:43], v[102:103], v[42:43]
	v_fma_f64 v[102:103], v[52:53], s[12:13], -v[216:217]
	v_add_f64_e32 v[134:135], v[248:249], v[134:135]
	v_add_f64_e32 v[20:21], v[204:205], v[20:21]
	;; [unrolled: 1-line block ×3, first 2 shown]
	v_fma_f64 v[216:217], v[52:53], s[12:13], v[216:217]
	v_add_f64_e32 v[170:171], v[170:171], v[200:201]
	v_add_f64_e32 v[172:173], v[172:173], v[210:211]
	;; [unrolled: 1-line block ×4, first 2 shown]
	v_mul_f64_e32 v[142:143], s[14:15], v[92:93]
	v_add_f64_e32 v[32:33], v[232:233], v[32:33]
	v_fma_f64 v[232:233], v[90:91], s[16:17], -v[206:207]
	v_mul_f64_e32 v[188:189], s[40:41], v[92:93]
	v_mul_f64_e32 v[122:123], s[40:41], v[54:55]
	v_add_f64_e32 v[116:117], v[238:239], v[116:117]
	v_mul_f64_e32 v[226:227], s[18:19], v[92:93]
	v_mul_f64_e32 v[228:229], s[18:19], v[54:55]
	v_add_f64_e32 v[108:109], v[190:191], v[108:109]
	v_mul_f64_e32 v[190:191], s[48:49], v[54:55]
	v_mul_f64_e32 v[54:55], s[38:39], v[54:55]
	v_fma_f64 v[204:205], v[90:91], s[6:7], -v[112:113]
	v_add_f64_e32 v[26:27], v[252:253], v[26:27]
	v_fma_f64 v[252:253], v[48:49], s[6:7], v[24:25]
	v_add_f64_e32 v[34:35], v[154:155], v[34:35]
	v_fma_f64 v[154:155], v[60:61], s[26:27], v[214:215]
	v_add_f64_e32 v[30:31], v[250:251], v[30:31]
	v_add_f64_e32 v[10:11], v[100:101], v[10:11]
	;; [unrolled: 1-line block ×3, first 2 shown]
	v_fma_f64 v[186:187], v[90:91], s[26:27], -v[94:95]
	v_add_f64_e32 v[156:157], v[160:161], v[156:157]
	v_fma_f64 v[160:161], v[48:49], s[26:27], v[50:51]
	v_mul_f64_e32 v[220:221], s[38:39], v[84:85]
	v_add_f64_e32 v[124:125], v[128:129], v[124:125]
	v_fma_f64 v[128:129], v[90:91], s[30:31], -v[130:131]
	v_add_f64_e32 v[152:153], v[152:153], v[194:195]
	v_fma_f64 v[194:195], v[48:49], s[30:31], v[254:255]
	v_mul_f64_e32 v[234:235], s[18:19], v[84:85]
	v_add_f64_e32 v[38:39], v[218:219], v[38:39]
	v_add_f64_e32 v[42:43], v[102:103], v[42:43]
	v_mul_f64_e32 v[102:103], s[48:49], v[92:93]
	v_mul_f64_e32 v[92:93], s[38:39], v[92:93]
	v_add_f64_e32 v[20:21], v[182:183], v[20:21]
	v_fma_f64 v[182:183], v[90:91], s[0:1], -v[242:243]
	v_fma_f64 v[218:219], v[82:83], s[16:17], v[136:137]
	v_add_f64_e32 v[46:47], v[216:217], v[46:47]
	v_fma_f64 v[216:217], v[60:61], s[16:17], -v[138:139]
	v_add_f64_e32 v[192:193], v[244:245], v[192:193]
	v_fma_f64 v[244:245], v[82:83], s[0:1], v[114:115]
	v_fma_f64 v[250:251], v[48:49], s[0:1], v[246:247]
	v_add_f64_e32 v[16:17], v[16:17], v[134:135]
	v_fma_f64 v[206:207], v[90:91], s[16:17], v[206:207]
	v_fma_f64 v[198:199], v[48:49], s[16:17], -v[198:199]
	v_fma_f64 v[112:113], v[90:91], s[6:7], v[112:113]
	v_fma_f64 v[24:25], v[48:49], s[6:7], -v[24:25]
	;; [unrolled: 2-line block ×3, first 2 shown]
	v_add_f64_e32 v[158:159], v[162:163], v[158:159]
	v_add_f64_e32 v[162:163], v[168:169], v[164:165]
	;; [unrolled: 1-line block ×8, first 2 shown]
	v_fma_f64 v[14:15], v[90:91], s[0:1], v[242:243]
	v_add_f64_e32 v[18:19], v[18:19], v[178:179]
	v_fma_f64 v[28:29], v[48:49], s[0:1], -v[246:247]
	v_fma_f64 v[98:99], v[52:53], s[26:27], v[98:99]
	v_fma_f64 v[90:91], v[90:91], s[26:27], v[94:95]
	v_add_f64_e32 v[56:57], v[96:97], v[56:57]
	v_fma_f64 v[48:49], v[48:49], s[26:27], -v[50:51]
	v_add_f64_e32 v[40:41], v[44:45], v[40:41]
	v_mul_f64_e32 v[120:121], s[42:43], v[88:89]
	v_mul_f64_e32 v[238:239], s[24:25], v[88:89]
	v_add_f64_e32 v[32:33], v[232:233], v[32:33]
	v_fma_f64 v[232:233], v[86:87], s[0:1], -v[142:143]
	v_fma_f64 v[134:135], v[86:87], s[16:17], -v[188:189]
	v_fma_f64 v[100:101], v[52:53], s[16:17], v[122:123]
	v_add_f64_e32 v[116:117], v[204:205], v[116:117]
	v_add_f64_e32 v[36:37], v[252:253], v[36:37]
	;; [unrolled: 1-line block ×3, first 2 shown]
	v_mul_f64_e32 v[154:155], s[24:25], v[62:63]
	v_add_f64_e32 v[118:119], v[128:129], v[118:119]
	v_add_f64_e32 v[128:129], v[194:195], v[132:133]
	v_fma_f64 v[132:133], v[86:87], s[10:11], -v[226:227]
	v_fma_f64 v[168:169], v[52:53], s[10:11], v[228:229]
	v_mul_f64_e32 v[170:171], s[36:37], v[88:89]
	v_mul_f64_e32 v[172:173], s[36:37], v[62:63]
	v_add_f64_e32 v[30:31], v[182:183], v[30:31]
	v_mul_f64_e32 v[180:181], s[44:45], v[88:89]
	v_mul_f64_e32 v[182:183], s[44:45], v[62:63]
	v_add_f64_e32 v[10:11], v[186:187], v[10:11]
	v_fma_f64 v[184:185], v[86:87], s[30:31], -v[92:93]
	v_mul_f64_e32 v[88:89], s[22:23], v[88:89]
	v_add_f64_e32 v[8:9], v[160:161], v[8:9]
	v_fma_f64 v[160:161], v[52:53], s[30:31], v[54:55]
	v_mul_f64_e32 v[62:63], s[22:23], v[62:63]
	v_fma_f64 v[126:127], v[76:77], s[30:31], v[220:221]
	v_add_f64_e32 v[38:39], v[218:219], v[38:39]
	v_add_f64_e32 v[42:43], v[216:217], v[42:43]
	v_fma_f64 v[216:217], v[76:77], s[10:11], v[234:235]
	v_add_f64_e32 v[192:193], v[244:245], v[192:193]
	v_add_f64_e32 v[16:17], v[250:251], v[16:17]
	v_fma_f64 v[174:175], v[86:87], s[2:3], -v[102:103]
	v_fma_f64 v[178:179], v[52:53], s[2:3], v[190:191]
	v_add_f64_e32 v[156:157], v[206:207], v[156:157]
	v_fma_f64 v[142:143], v[86:87], s[0:1], v[142:143]
	v_add_f64_e32 v[158:159], v[198:199], v[158:159]
	v_fma_f64 v[186:187], v[52:53], s[0:1], -v[212:213]
	v_add_f64_e32 v[112:113], v[112:113], v[162:163]
	v_fma_f64 v[94:95], v[86:87], s[16:17], v[188:189]
	v_add_f64_e32 v[24:25], v[24:25], v[58:59]
	v_fma_f64 v[44:45], v[52:53], s[16:17], -v[122:123]
	;; [unrolled: 4-line block ×4, first 2 shown]
	v_mul_f64_e32 v[210:211], s[14:15], v[66:67]
	v_mul_f64_e32 v[150:151], s[36:37], v[66:67]
	v_add_f64_e32 v[22:23], v[98:99], v[22:23]
	v_fma_f64 v[208:209], v[60:61], s[10:11], v[208:209]
	v_fma_f64 v[86:87], v[86:87], s[30:31], v[92:93]
	v_add_f64_e32 v[56:57], v[90:91], v[56:57]
	v_fma_f64 v[52:53], v[52:53], s[30:31], -v[54:55]
	v_add_f64_e32 v[40:41], v[48:49], v[40:41]
	v_mul_f64_e32 v[222:223], s[38:39], v[66:67]
	v_mul_f64_e32 v[200:201], s[14:15], v[84:85]
	;; [unrolled: 1-line block ×3, first 2 shown]
	v_fma_f64 v[138:139], v[60:61], s[16:17], v[138:139]
	v_add_f64_e32 v[32:33], v[232:233], v[32:33]
	v_fma_f64 v[232:233], v[82:83], s[26:27], -v[120:121]
	v_add_f64_e32 v[116:117], v[134:135], v[116:117]
	v_add_f64_e32 v[36:37], v[100:101], v[36:37]
	v_fma_f64 v[100:101], v[82:83], s[2:3], -v[238:239]
	v_fma_f64 v[134:135], v[60:61], s[2:3], v[154:155]
	v_mul_f64_e32 v[162:163], s[50:51], v[84:85]
	v_mul_f64_e32 v[164:165], s[50:51], v[66:67]
	v_add_f64_e32 v[118:119], v[132:133], v[118:119]
	v_add_f64_e32 v[128:129], v[168:169], v[128:129]
	v_fma_f64 v[132:133], v[82:83], s[6:7], -v[170:171]
	v_fma_f64 v[166:167], v[60:61], s[6:7], v[172:173]
	v_mul_f64_e32 v[168:169], s[34:35], v[84:85]
	v_mul_f64_e32 v[188:189], s[34:35], v[66:67]
	;; [unrolled: 1-line block ×3, first 2 shown]
	v_add_f64_e32 v[10:11], v[184:185], v[10:11]
	v_fma_f64 v[184:185], v[82:83], s[12:13], -v[88:89]
	v_mul_f64_e32 v[84:85], s[24:25], v[84:85]
	v_add_f64_e32 v[8:9], v[160:161], v[8:9]
	v_fma_f64 v[48:49], v[60:61], s[12:13], v[62:63]
	v_mul_f64_e32 v[54:55], s[24:25], v[66:67]
	v_add_f64_e32 v[38:39], v[126:127], v[38:39]
	v_add_f64_e32 v[126:127], v[216:217], v[192:193]
	v_add_f64_e32 v[30:31], v[174:175], v[30:31]
	v_add_f64_e32 v[16:17], v[178:179], v[16:17]
	v_fma_f64 v[174:175], v[82:83], s[30:31], -v[180:181]
	v_fma_f64 v[178:179], v[60:61], s[30:31], v[182:183]
	v_mul_f64_e32 v[192:193], s[28:29], v[66:67]
	v_fma_f64 v[196:197], v[82:83], s[10:11], -v[196:197]
	v_mul_f64_e32 v[236:237], s[18:19], v[66:67]
	v_fma_f64 v[136:137], v[82:83], s[16:17], -v[136:137]
	v_fma_f64 v[114:115], v[82:83], s[0:1], -v[114:115]
	v_add_f64_e32 v[66:67], v[142:143], v[156:157]
	v_add_f64_e32 v[90:91], v[186:187], v[158:159]
	;; [unrolled: 1-line block ×8, first 2 shown]
	v_fma_f64 v[18:19], v[82:83], s[26:27], v[120:121]
	v_fma_f64 v[28:29], v[60:61], s[26:27], -v[214:215]
	v_fma_f64 v[58:59], v[82:83], s[2:3], v[238:239]
	v_fma_f64 v[94:95], v[60:61], s[2:3], -v[154:155]
	;; [unrolled: 2-line block ×4, first 2 shown]
	v_add_f64_e32 v[202:203], v[224:225], v[202:203]
	v_fma_f64 v[224:225], v[64:65], s[0:1], -v[210:211]
	v_fma_f64 v[210:211], v[64:65], s[0:1], v[210:211]
	v_add_f64_e32 v[22:23], v[208:209], v[22:23]
	v_fma_f64 v[130:131], v[64:65], s[6:7], v[150:151]
	v_fma_f64 v[82:83], v[82:83], s[12:13], v[88:89]
	v_add_f64_e32 v[56:57], v[86:87], v[56:57]
	v_fma_f64 v[60:61], v[60:61], s[12:13], -v[62:63]
	v_add_f64_e32 v[40:41], v[52:53], v[40:41]
	v_mul_f64_e32 v[144:145], s[42:43], v[78:79]
	v_mul_f64_e32 v[146:147], s[42:43], v[80:81]
	;; [unrolled: 1-line block ×6, first 2 shown]
	v_fma_f64 v[230:231], v[64:65], s[30:31], -v[222:223]
	v_fma_f64 v[222:223], v[64:65], s[30:31], v[222:223]
	v_add_f64_e32 v[46:47], v[138:139], v[46:47]
	v_add_f64_e32 v[32:33], v[232:233], v[32:33]
	v_fma_f64 v[102:103], v[76:77], s[6:7], -v[148:149]
	v_mul_f64_e32 v[142:143], s[22:23], v[78:79]
	v_mul_f64_e32 v[154:155], s[22:23], v[80:81]
	v_add_f64_e32 v[100:101], v[100:101], v[116:117]
	v_add_f64_e32 v[36:37], v[134:135], v[36:37]
	v_fma_f64 v[116:117], v[76:77], s[12:13], -v[162:163]
	v_fma_f64 v[134:135], v[64:65], s[12:13], v[164:165]
	v_mul_f64_e32 v[156:157], s[18:19], v[78:79]
	v_mul_f64_e32 v[158:159], s[18:19], v[80:81]
	v_add_f64_e32 v[118:119], v[132:133], v[118:119]
	v_add_f64_e32 v[128:129], v[166:167], v[128:129]
	v_fma_f64 v[132:133], v[76:77], s[26:27], -v[168:169]
	v_fma_f64 v[160:161], v[64:65], s[26:27], v[188:189]
	v_mul_f64_e32 v[166:167], s[24:25], v[78:79]
	v_mul_f64_e32 v[170:171], s[24:25], v[80:81]
	;; [unrolled: 1-line block ×4, first 2 shown]
	v_add_f64_e32 v[10:11], v[184:185], v[10:11]
	v_fma_f64 v[172:173], v[76:77], s[2:3], -v[84:85]
	v_add_f64_e32 v[8:9], v[48:49], v[8:9]
	v_fma_f64 v[48:49], v[64:65], s[2:3], v[54:55]
	v_mul_f64_e32 v[78:79], s[14:15], v[78:79]
	v_mul_f64_e32 v[80:81], s[14:15], v[80:81]
	v_add_f64_e32 v[30:31], v[174:175], v[30:31]
	v_add_f64_e32 v[16:17], v[178:179], v[16:17]
	v_fma_f64 v[52:53], v[76:77], s[16:17], -v[190:191]
	v_fma_f64 v[62:63], v[64:65], s[16:17], v[192:193]
	v_fma_f64 v[244:245], v[76:77], s[0:1], v[200:201]
	v_fma_f64 v[200:201], v[76:77], s[0:1], -v[200:201]
	v_add_f64_e32 v[26:27], v[196:197], v[26:27]
	v_add_f64_e32 v[108:109], v[136:137], v[108:109]
	v_fma_f64 v[136:137], v[64:65], s[10:11], -v[236:237]
	v_fma_f64 v[234:235], v[76:77], s[10:11], -v[234:235]
	v_fma_f64 v[236:237], v[64:65], s[10:11], v[236:237]
	v_add_f64_e32 v[110:111], v[114:115], v[110:111]
	v_fma_f64 v[220:221], v[76:77], s[30:31], -v[220:221]
	v_add_f64_e32 v[18:19], v[18:19], v[66:67]
	v_add_f64_e32 v[28:29], v[28:29], v[90:91]
	;; [unrolled: 1-line block ×6, first 2 shown]
	v_fma_f64 v[66:67], v[76:77], s[6:7], v[148:149]
	v_fma_f64 v[90:91], v[64:65], s[6:7], -v[150:151]
	v_fma_f64 v[92:93], v[76:77], s[12:13], v[162:163]
	v_fma_f64 v[94:95], v[64:65], s[12:13], -v[164:165]
	v_fma_f64 v[96:97], v[76:77], s[26:27], v[168:169]
	v_fma_f64 v[112:113], v[64:65], s[26:27], -v[188:189]
	v_add_f64_e32 v[12:13], v[120:121], v[12:13]
	v_add_f64_e32 v[14:15], v[122:123], v[14:15]
	v_fma_f64 v[120:121], v[76:77], s[16:17], v[190:191]
	v_fma_f64 v[122:123], v[64:65], s[16:17], -v[192:193]
	v_add_f64_e32 v[162:163], v[210:211], v[22:23]
	v_fma_f64 v[22:23], v[76:77], s[2:3], v[84:85]
	v_add_f64_e32 v[56:57], v[82:83], v[56:57]
	v_add_f64_e32 v[76:77], v[130:131], v[34:35]
	v_fma_f64 v[34:35], v[64:65], s[2:3], -v[54:55]
	v_add_f64_e32 v[40:41], v[60:61], v[40:41]
	v_fma_f64 v[218:219], v[74:75], s[26:27], -v[146:147]
	v_fma_f64 v[146:147], v[74:75], s[26:27], v[146:147]
	v_add_f64_e32 v[46:47], v[222:223], v[46:47]
	v_add_f64_e32 v[32:33], v[102:103], v[32:33]
	;; [unrolled: 1-line block ×8, first 2 shown]
	v_fma_f64 v[134:135], v[72:73], s[0:1], -v[78:79]
	v_fma_f64 v[160:161], v[74:75], s[0:1], v[80:81]
	v_add_f64_e32 v[42:43], v[230:231], v[42:43]
	v_add_f64_e32 v[52:53], v[52:53], v[30:31]
	;; [unrolled: 1-line block ×3, first 2 shown]
	v_fma_f64 v[128:129], v[72:73], s[6:7], -v[86:87]
	v_fma_f64 v[130:131], v[74:75], s[6:7], v[88:89]
	v_fma_f64 v[98:99], v[72:73], s[26:27], v[144:145]
	v_fma_f64 v[36:37], v[72:73], s[10:11], -v[156:157]
	v_fma_f64 v[116:117], v[72:73], s[2:3], -v[166:167]
	v_fma_f64 v[118:119], v[74:75], s[2:3], v[170:171]
	v_fma_f64 v[54:55], v[72:73], s[12:13], -v[142:143]
	v_fma_f64 v[84:85], v[74:75], s[10:11], v[158:159]
	v_fma_f64 v[60:61], v[74:75], s[12:13], v[154:155]
	v_fma_f64 v[150:151], v[74:75], s[16:17], -v[140:141]
	v_add_f64_e32 v[26:27], v[200:201], v[26:27]
	v_fma_f64 v[164:165], v[72:73], s[16:17], -v[176:177]
	v_fma_f64 v[140:141], v[74:75], s[16:17], v[140:141]
	v_fma_f64 v[138:139], v[72:73], s[30:31], v[240:241]
	v_fma_f64 v[114:115], v[74:75], s[30:31], -v[248:249]
	v_fma_f64 v[240:241], v[72:73], s[30:31], -v[240:241]
	v_fma_f64 v[248:249], v[74:75], s[30:31], v[248:249]
	v_add_f64_e32 v[110:111], v[234:235], v[110:111]
	v_add_f64_e32 v[124:125], v[236:237], v[124:125]
	v_fma_f64 v[144:145], v[72:73], s[26:27], -v[144:145]
	v_add_f64_e32 v[108:109], v[220:221], v[108:109]
	v_add_f64_e32 v[136:137], v[136:137], v[202:203]
	;; [unrolled: 1-line block ×4, first 2 shown]
	v_fma_f64 v[148:149], v[72:73], s[16:17], v[176:177]
	v_add_f64_e32 v[66:67], v[66:67], v[18:19]
	v_add_f64_e32 v[90:91], v[90:91], v[28:29]
	v_add_f64_e32 v[58:59], v[92:93], v[58:59]
	v_add_f64_e32 v[92:93], v[94:95], v[24:25]
	v_add_f64_e32 v[94:95], v[96:97], v[44:45]
	v_add_f64_e32 v[96:97], v[112:113], v[50:51]
	v_fma_f64 v[50:51], v[72:73], s[12:13], v[142:143]
	v_fma_f64 v[154:155], v[74:75], s[12:13], -v[154:155]
	v_add_f64_e32 v[112:113], v[120:121], v[12:13]
	v_add_f64_e32 v[120:121], v[122:123], v[14:15]
	v_fma_f64 v[122:123], v[72:73], s[10:11], v[156:157]
	v_fma_f64 v[156:157], v[74:75], s[10:11], -v[158:159]
	v_fma_f64 v[142:143], v[72:73], s[2:3], v[166:167]
	v_fma_f64 v[86:87], v[72:73], s[6:7], v[86:87]
	;; [unrolled: 1-line block ×3, first 2 shown]
	v_fma_f64 v[78:79], v[74:75], s[2:3], -v[170:171]
	v_fma_f64 v[88:89], v[74:75], s[6:7], -v[88:89]
	v_add_f64_e32 v[158:159], v[22:23], v[56:57]
	v_fma_f64 v[74:75], v[74:75], s[0:1], -v[80:81]
	v_add_f64_e32 v[80:81], v[34:35], v[40:41]
	v_add_f64_e32 v[2:3], v[6:7], v[2:3]
	;; [unrolled: 1-line block ×34, first 2 shown]
	v_mul_u32_u24_e32 v72, 0x110, v68
	v_add_f64_e32 v[64:65], v[74:75], v[80:81]
	s_delay_alu instid0(VALU_DEP_2)
	v_add3_u32 v72, 0, v72, v104
	ds_store_b128 v72, v[0:3]
	ds_store_b128 v72, v[44:47] offset:16
	ds_store_b128 v72, v[40:43] offset:32
	;; [unrolled: 1-line block ×16, first 2 shown]
.LBB0_19:
	s_or_b32 exec_lo, exec_lo, s33
	v_add_nc_u16 v2, v68, 0x66
	v_and_b32_e32 v1, 0xff, v68
	v_add_nc_u32_e32 v3, 0xcc, v68
	v_add_nc_u32_e32 v4, 0x132, v68
	global_wb scope:SCOPE_SE
	s_wait_dscnt 0x0
	v_and_b32_e32 v0, 0xff, v2
	v_mul_lo_u16 v1, 0xf1, v1
	v_and_b32_e32 v5, 0xffff, v3
	s_barrier_signal -1
	s_barrier_wait -1
	v_mul_lo_u16 v7, 0xf1, v0
	v_lshrrev_b16 v6, 12, v1
	v_and_b32_e32 v1, 0xffff, v4
	v_mul_u32_u24_e32 v8, 0xf0f1, v5
	global_inv scope:SCOPE_SE
	v_lshrrev_b16 v7, 12, v7
	v_mul_lo_u16 v10, v6, 17
	v_mul_u32_u24_e32 v1, 0xf0f1, v1
	v_lshrrev_b32_e32 v9, 20, v8
	v_cmp_gt_u32_e64 s0, 51, v68
	v_mul_lo_u16 v8, v7, 17
	v_sub_nc_u16 v10, v68, v10
	v_lshrrev_b32_e32 v12, 20, v1
	v_mul_lo_u16 v1, v9, 17
	s_mov_b32 s6, 0xe8584caa
	v_sub_nc_u16 v8, v2, v8
	v_and_b32_e32 v10, 0xff, v10
	v_mul_lo_u16 v11, v12, 17
	v_sub_nc_u16 v1, v3, v1
	s_mov_b32 s7, 0xbfebb67a
	v_and_b32_e32 v8, 0xff, v8
	v_lshlrev_b32_e32 v13, 5, v10
	v_sub_nc_u16 v4, v4, v11
	v_and_b32_e32 v11, 0xffff, v1
	s_mov_b32 s3, 0x3febb67a
	v_lshlrev_b32_e32 v1, 5, v8
	s_clause 0x1
	global_load_b128 v[14:17], v13, s[4:5]
	global_load_b128 v[18:21], v13, s[4:5] offset:16
	v_and_b32_e32 v13, 0xffff, v4
	v_lshlrev_b32_e32 v4, 5, v11
	s_wait_alu 0xfffe
	s_mov_b32 s2, s6
	s_clause 0x1
	global_load_b128 v[22:25], v1, s[4:5]
	global_load_b128 v[26:29], v1, s[4:5] offset:16
	v_and_b32_e32 v7, 0xffff, v7
	v_lshlrev_b32_e32 v1, 5, v13
	s_clause 0x3
	global_load_b128 v[30:33], v4, s[4:5]
	global_load_b128 v[34:37], v4, s[4:5] offset:16
	global_load_b128 v[38:41], v1, s[4:5]
	global_load_b128 v[42:45], v1, s[4:5] offset:16
	ds_load_b128 v[46:49], v69 offset:6528
	ds_load_b128 v[50:53], v69 offset:13056
	;; [unrolled: 1-line block ×8, first 2 shown]
	v_subrev_nc_u32_e32 v1, 51, v68
	v_lshlrev_b32_e32 v10, 4, v10
	v_mad_u32_u24 v9, 0x330, v9, 0
	v_mad_u32_u24 v12, 0x330, v12, 0
	s_delay_alu instid0(VALU_DEP_4)
	v_cndmask_b32_e64 v4, v1, v68, s0
	v_mov_b32_e32 v1, 0
	s_wait_loadcnt_dscnt 0x707
	v_mul_f64_e32 v[66:67], v[48:49], v[16:17]
	v_mul_f64_e32 v[16:17], v[46:47], v[16:17]
	s_wait_loadcnt_dscnt 0x606
	v_mul_f64_e32 v[84:85], v[52:53], v[20:21]
	v_mul_f64_e32 v[20:21], v[50:51], v[20:21]
	;; [unrolled: 3-line block ×4, first 2 shown]
	s_wait_loadcnt_dscnt 0x303
	v_mul_f64_e32 v[90:91], v[64:65], v[32:33]
	s_wait_loadcnt_dscnt 0x202
	v_mul_f64_e32 v[92:93], v[74:75], v[36:37]
	v_mul_f64_e32 v[32:33], v[62:63], v[32:33]
	;; [unrolled: 1-line block ×3, first 2 shown]
	s_wait_loadcnt_dscnt 0x101
	v_mul_f64_e32 v[94:95], v[78:79], v[40:41]
	v_mul_f64_e32 v[40:41], v[76:77], v[40:41]
	s_wait_loadcnt_dscnt 0x0
	v_mul_f64_e32 v[96:97], v[82:83], v[44:45]
	v_mul_f64_e32 v[44:45], v[80:81], v[44:45]
	v_fma_f64 v[46:47], v[46:47], v[14:15], v[66:67]
	v_fma_f64 v[48:49], v[48:49], v[14:15], -v[16:17]
	v_fma_f64 v[50:51], v[50:51], v[18:19], v[84:85]
	v_fma_f64 v[52:53], v[52:53], v[18:19], -v[20:21]
	;; [unrolled: 2-line block ×4, first 2 shown]
	v_fma_f64 v[62:63], v[62:63], v[30:31], v[90:91]
	v_fma_f64 v[66:67], v[72:73], v[34:35], v[92:93]
	v_fma_f64 v[30:31], v[64:65], v[30:31], -v[32:33]
	v_fma_f64 v[32:33], v[74:75], v[34:35], -v[36:37]
	v_fma_f64 v[34:35], v[76:77], v[38:39], v[94:95]
	v_fma_f64 v[36:37], v[78:79], v[38:39], -v[40:41]
	v_fma_f64 v[38:39], v[80:81], v[42:43], v[96:97]
	v_fma_f64 v[40:41], v[82:83], v[42:43], -v[44:45]
	ds_load_b128 v[14:17], v106
	ds_load_b128 v[18:21], v69 offset:1632
	ds_load_b128 v[22:25], v69 offset:3264
	;; [unrolled: 1-line block ×3, first 2 shown]
	global_wb scope:SCOPE_SE
	s_wait_dscnt 0x0
	s_barrier_signal -1
	s_barrier_wait -1
	global_inv scope:SCOPE_SE
	v_add_f64_e32 v[82:83], v[14:15], v[46:47]
	v_add_f64_e32 v[42:43], v[46:47], v[50:51]
	;; [unrolled: 1-line block ×3, first 2 shown]
	v_add_f64_e64 v[84:85], v[48:49], -v[52:53]
	v_add_f64_e32 v[48:49], v[16:17], v[48:49]
	v_add_f64_e32 v[64:65], v[54:55], v[58:59]
	;; [unrolled: 1-line block ×3, first 2 shown]
	v_add_f64_e64 v[46:47], v[46:47], -v[50:51]
	v_add_f64_e32 v[74:75], v[62:63], v[66:67]
	v_add_f64_e32 v[92:93], v[24:25], v[30:31]
	;; [unrolled: 1-line block ×9, first 2 shown]
	v_add_f64_e64 v[56:57], v[56:57], -v[60:61]
	v_add_f64_e64 v[54:55], v[54:55], -v[58:59]
	v_add_f64_e32 v[90:91], v[22:23], v[62:63]
	v_add_f64_e64 v[98:99], v[30:31], -v[32:33]
	v_add_f64_e64 v[62:63], v[62:63], -v[66:67]
	;; [unrolled: 1-line block ×4, first 2 shown]
	v_fma_f64 v[42:43], v[42:43], -0.5, v[14:15]
	v_fma_f64 v[44:45], v[44:45], -0.5, v[16:17]
	v_mul_lo_u16 v14, 0xa1, v0
	v_mul_i32_i24_e32 v0, 3, v4
	v_fma_f64 v[64:65], v[64:65], -0.5, v[18:19]
	v_fma_f64 v[72:73], v[72:73], -0.5, v[20:21]
	v_mul_u32_u24_e32 v15, 0xa0a1, v5
	v_fma_f64 v[74:75], v[74:75], -0.5, v[22:23]
	v_and_b32_e32 v16, 0xffff, v6
	v_fma_f64 v[76:77], v[76:77], -0.5, v[24:25]
	v_lshrrev_b16 v108, 13, v14
	v_lshlrev_b64_e32 v[5:6], 4, v[0:1]
	v_fma_f64 v[78:79], v[78:79], -0.5, v[26:27]
	v_fma_f64 v[80:81], v[80:81], -0.5, v[28:29]
	v_lshrrev_b32_e32 v0, 21, v15
	v_mad_u32_u24 v109, 0x330, v16, 0
	v_add_f64_e32 v[14:15], v[82:83], v[50:51]
	v_add_f64_e32 v[16:17], v[48:49], v[52:53]
	;; [unrolled: 1-line block ×8, first 2 shown]
	v_mul_lo_u16 v110, v108, 51
	v_lshlrev_b32_e32 v4, 4, v4
	v_fma_f64 v[30:31], v[84:85], s[6:7], v[42:43]
	s_wait_alu 0xfffe
	v_fma_f64 v[32:33], v[46:47], s[2:3], v[44:45]
	v_fma_f64 v[34:35], v[84:85], s[2:3], v[42:43]
	;; [unrolled: 1-line block ×15, first 2 shown]
	v_mul_lo_u16 v62, v0, 51
	v_sub_nc_u16 v63, v2, v110
	v_add_co_u32 v2, s0, s4, v5
	v_mad_u32_u24 v5, 0x330, v7, 0
	s_delay_alu instid0(VALU_DEP_4) | instskip(NEXT) | instid1(VALU_DEP_4)
	v_sub_nc_u16 v62, v3, v62
	v_and_b32_e32 v67, 0xff, v63
	v_lshlrev_b32_e32 v7, 4, v8
	s_wait_alu 0xf1ff
	v_add_co_ci_u32_e64 v3, s0, s5, v6, s0
	v_and_b32_e32 v102, 0xffff, v62
	v_add3_u32 v6, v109, v10, v104
	v_lshlrev_b32_e32 v8, 4, v11
	v_lshlrev_b32_e32 v10, 4, v13
	v_mul_u32_u24_e32 v13, 3, v67
	v_add3_u32 v5, v5, v7, v104
	v_cmp_lt_u32_e64 s0, 50, v68
	v_add3_u32 v7, v9, v8, v104
	v_add3_u32 v8, v12, v10, v104
	v_mad_u32_u24 v0, 0xcc0, v0, 0
	ds_store_b128 v6, v[14:17]
	ds_store_b128 v6, v[30:33] offset:272
	ds_store_b128 v6, v[34:37] offset:544
	ds_store_b128 v5, v[18:21]
	ds_store_b128 v5, v[38:41] offset:272
	ds_store_b128 v5, v[42:45] offset:544
	;; [unrolled: 3-line block ×4, first 2 shown]
	v_lshlrev_b32_e32 v25, 4, v13
	v_mul_u32_u24_e32 v21, 3, v102
	global_wb scope:SCOPE_SE
	s_wait_dscnt 0x0
	s_barrier_signal -1
	s_barrier_wait -1
	global_inv scope:SCOPE_SE
	s_clause 0x3
	global_load_b128 v[5:8], v[2:3], off offset:560
	global_load_b128 v[9:12], v[2:3], off offset:544
	;; [unrolled: 1-line block ×3, first 2 shown]
	global_load_b128 v[17:20], v25, s[4:5] offset:544
	v_lshlrev_b32_e32 v2, 4, v21
	s_clause 0x4
	global_load_b128 v[21:24], v25, s[4:5] offset:560
	global_load_b128 v[25:28], v25, s[4:5] offset:576
	;; [unrolled: 1-line block ×5, first 2 shown]
	ds_load_b128 v[41:44], v69 offset:4896
	ds_load_b128 v[45:48], v69 offset:9792
	;; [unrolled: 1-line block ×10, first 2 shown]
	s_wait_loadcnt_dscnt 0x808
	v_mul_f64_e32 v[65:66], v[47:48], v[7:8]
	s_wait_loadcnt 0x7
	v_mul_f64_e32 v[2:3], v[43:44], v[11:12]
	v_mul_f64_e32 v[11:12], v[41:42], v[11:12]
	;; [unrolled: 1-line block ×3, first 2 shown]
	s_wait_loadcnt_dscnt 0x607
	v_mul_f64_e32 v[88:89], v[51:52], v[15:16]
	v_mul_f64_e32 v[15:16], v[49:50], v[15:16]
	s_wait_loadcnt_dscnt 0x506
	v_mul_f64_e32 v[90:91], v[55:56], v[19:20]
	v_mul_f64_e32 v[19:20], v[53:54], v[19:20]
	s_wait_loadcnt_dscnt 0x405
	v_mul_f64_e32 v[92:93], v[59:60], v[23:24]
	v_mul_f64_e32 v[23:24], v[57:58], v[23:24]
	s_wait_loadcnt_dscnt 0x304
	v_mul_f64_e32 v[94:95], v[63:64], v[27:28]
	v_mul_f64_e32 v[27:28], v[61:62], v[27:28]
	s_wait_loadcnt_dscnt 0x203
	v_mul_f64_e32 v[96:97], v[74:75], v[31:32]
	v_mul_f64_e32 v[31:32], v[72:73], v[31:32]
	s_wait_loadcnt_dscnt 0x102
	v_mul_f64_e32 v[98:99], v[78:79], v[35:36]
	v_mul_f64_e32 v[35:36], v[76:77], v[35:36]
	s_wait_loadcnt_dscnt 0x1
	v_mul_f64_e32 v[100:101], v[82:83], v[39:40]
	v_mul_f64_e32 v[39:40], v[80:81], v[39:40]
	v_fma_f64 v[2:3], v[41:42], v[9:10], v[2:3]
	v_fma_f64 v[41:42], v[43:44], v[9:10], -v[11:12]
	v_fma_f64 v[43:44], v[45:46], v[5:6], v[65:66]
	v_fma_f64 v[45:46], v[47:48], v[5:6], -v[7:8]
	;; [unrolled: 2-line block ×9, first 2 shown]
	ds_load_b128 v[5:8], v106
	ds_load_b128 v[9:12], v69 offset:1632
	global_wb scope:SCOPE_SE
	s_wait_dscnt 0x0
	s_barrier_signal -1
	s_barrier_wait -1
	global_inv scope:SCOPE_SE
	v_add_f64_e64 v[39:40], v[5:6], -v[43:44]
	v_add_f64_e64 v[43:44], v[7:8], -v[45:46]
	;; [unrolled: 1-line block ×12, first 2 shown]
	v_fma_f64 v[35:36], v[5:6], 2.0, -v[39:40]
	v_fma_f64 v[55:56], v[7:8], 2.0, -v[43:44]
	;; [unrolled: 1-line block ×4, first 2 shown]
	v_add_f64_e32 v[5:6], v[39:40], v[13:14]
	v_add_f64_e64 v[7:8], v[43:44], -v[45:46]
	v_fma_f64 v[41:42], v[9:10], 2.0, -v[47:48]
	v_fma_f64 v[57:58], v[11:12], 2.0, -v[49:50]
	;; [unrolled: 1-line block ×4, first 2 shown]
	v_add_f64_e32 v[9:10], v[47:48], v[19:20]
	v_fma_f64 v[59:60], v[84:85], 2.0, -v[51:52]
	v_fma_f64 v[61:62], v[86:87], 2.0, -v[53:54]
	;; [unrolled: 1-line block ×4, first 2 shown]
	v_add_f64_e64 v[23:24], v[53:54], -v[23:24]
	v_add_f64_e64 v[13:14], v[35:36], -v[2:3]
	v_add_f64_e64 v[15:16], v[55:56], -v[31:32]
	s_wait_alu 0xf1ff
	v_cndmask_b32_e64 v2, 0, 0xcc0, s0
	v_fma_f64 v[31:32], v[43:44], 2.0, -v[7:8]
	v_and_b32_e32 v3, 0xffff, v108
	v_add_f64_e64 v[17:18], v[41:42], -v[11:12]
	v_add_f64_e64 v[19:20], v[57:58], -v[33:34]
	;; [unrolled: 1-line block ×3, first 2 shown]
	v_add_f64_e32 v[21:22], v[51:52], v[25:26]
	v_fma_f64 v[33:34], v[47:48], 2.0, -v[9:10]
	v_add_nc_u32_e32 v2, 0, v2
	v_add_f64_e64 v[25:26], v[59:60], -v[27:28]
	v_add_f64_e64 v[27:28], v[61:62], -v[29:30]
	v_fma_f64 v[29:30], v[39:40], 2.0, -v[5:6]
	v_fma_f64 v[47:48], v[53:54], 2.0, -v[23:24]
	v_mul_u32_u24_e32 v53, 5, v68
	v_mad_u32_u24 v3, 0xcc0, v3, 0
	v_lshlrev_b32_e32 v54, 4, v67
	v_add3_u32 v2, v2, v4, v104
	s_delay_alu instid0(VALU_DEP_4) | instskip(NEXT) | instid1(VALU_DEP_3)
	v_lshlrev_b32_e32 v53, 4, v53
	v_add3_u32 v3, v3, v54, v104
	v_fma_f64 v[37:38], v[35:36], 2.0, -v[13:14]
	v_fma_f64 v[39:40], v[55:56], 2.0, -v[15:16]
	v_lshlrev_b32_e32 v55, 4, v102
	v_fma_f64 v[41:42], v[41:42], 2.0, -v[17:18]
	v_fma_f64 v[43:44], v[57:58], 2.0, -v[19:20]
	;; [unrolled: 1-line block ×4, first 2 shown]
	v_add3_u32 v0, v0, v55, v104
	v_fma_f64 v[49:50], v[59:60], 2.0, -v[25:26]
	v_fma_f64 v[51:52], v[61:62], 2.0, -v[27:28]
	ds_store_b128 v2, v[13:16] offset:1632
	ds_store_b128 v2, v[5:8] offset:2448
	ds_store_b128 v2, v[37:40]
	ds_store_b128 v2, v[29:32] offset:816
	ds_store_b128 v3, v[41:44]
	ds_store_b128 v3, v[33:36] offset:816
	ds_store_b128 v3, v[17:20] offset:1632
	;; [unrolled: 1-line block ×3, first 2 shown]
	ds_store_b128 v0, v[49:52]
	ds_store_b128 v0, v[45:48] offset:816
	ds_store_b128 v0, v[25:28] offset:1632
	;; [unrolled: 1-line block ×3, first 2 shown]
	global_wb scope:SCOPE_SE
	s_wait_dscnt 0x0
	s_barrier_signal -1
	s_barrier_wait -1
	global_inv scope:SCOPE_SE
	s_clause 0x9
	global_load_b128 v[2:5], v53, s[4:5] offset:3024
	global_load_b128 v[6:9], v53, s[4:5] offset:3056
	;; [unrolled: 1-line block ×10, first 2 shown]
	ds_load_b128 v[42:45], v69 offset:9792
	ds_load_b128 v[46:49], v69 offset:16320
	;; [unrolled: 1-line block ×6, first 2 shown]
	v_add_nc_u32_e32 v0, v107, v104
	s_wait_loadcnt_dscnt 0x905
	v_mul_f64_e32 v[66:67], v[42:43], v[4:5]
	s_wait_loadcnt_dscnt 0x804
	v_mul_f64_e32 v[72:73], v[46:47], v[8:9]
	;; [unrolled: 2-line block ×5, first 2 shown]
	v_mul_f64_e32 v[4:5], v[44:45], v[4:5]
	v_mul_f64_e32 v[8:9], v[48:49], v[8:9]
	v_mul_f64_e32 v[12:13], v[52:53], v[12:13]
	v_mul_f64_e32 v[16:17], v[56:57], v[16:17]
	v_mul_f64_e32 v[20:21], v[60:61], v[20:21]
	v_fma_f64 v[44:45], v[44:45], v[2:3], -v[66:67]
	v_fma_f64 v[48:49], v[48:49], v[6:7], -v[72:73]
	s_wait_loadcnt_dscnt 0x400
	v_mul_f64_e32 v[66:67], v[62:63], v[24:25]
	v_fma_f64 v[52:53], v[52:53], v[10:11], -v[74:75]
	v_fma_f64 v[56:57], v[56:57], v[14:15], -v[76:77]
	ds_load_b128 v[72:75], v69 offset:6528
	ds_load_b128 v[76:79], v69 offset:13056
	;; [unrolled: 1-line block ×4, first 2 shown]
	v_fma_f64 v[42:43], v[42:43], v[2:3], v[4:5]
	v_fma_f64 v[46:47], v[46:47], v[6:7], v[8:9]
	v_fma_f64 v[60:61], v[60:61], v[18:19], -v[88:89]
	v_mul_f64_e32 v[24:25], v[64:65], v[24:25]
	v_fma_f64 v[10:11], v[50:51], v[10:11], v[12:13]
	v_fma_f64 v[12:13], v[54:55], v[14:15], v[16:17]
	;; [unrolled: 1-line block ×3, first 2 shown]
	s_wait_loadcnt_dscnt 0x303
	v_mul_f64_e32 v[90:91], v[74:75], v[28:29]
	v_mul_f64_e32 v[28:29], v[72:73], v[28:29]
	s_wait_loadcnt_dscnt 0x202
	v_mul_f64_e32 v[92:93], v[78:79], v[32:33]
	v_mul_f64_e32 v[32:33], v[76:77], v[32:33]
	;; [unrolled: 3-line block ×4, first 2 shown]
	v_add_f64_e32 v[2:3], v[44:45], v[48:49]
	v_fma_f64 v[14:15], v[64:65], v[22:23], -v[66:67]
	v_add_f64_e32 v[16:17], v[52:53], v[56:57]
	v_add_f64_e32 v[20:21], v[42:43], v[46:47]
	v_fma_f64 v[22:23], v[62:63], v[22:23], v[24:25]
	v_add_f64_e64 v[62:63], v[44:45], -v[48:49]
	v_add_f64_e64 v[24:25], v[10:11], -v[12:13]
	v_fma_f64 v[40:41], v[72:73], v[26:27], v[90:91]
	v_fma_f64 v[26:27], v[74:75], v[26:27], -v[28:29]
	v_fma_f64 v[28:29], v[76:77], v[30:31], v[92:93]
	v_fma_f64 v[30:31], v[78:79], v[30:31], -v[32:33]
	v_add_f64_e64 v[32:33], v[42:43], -v[46:47]
	v_fma_f64 v[50:51], v[80:81], v[34:35], v[4:5]
	v_fma_f64 v[34:35], v[82:83], v[34:35], -v[6:7]
	v_fma_f64 v[54:55], v[84:85], v[38:39], v[8:9]
	v_fma_f64 v[36:37], v[86:87], v[38:39], -v[36:37]
	v_add_f64_e32 v[6:7], v[10:11], v[12:13]
	v_add_f64_e64 v[74:75], v[52:53], -v[56:57]
	v_fma_f64 v[2:3], v[2:3], -0.5, v[60:61]
	v_fma_f64 v[16:17], v[16:17], -0.5, v[14:15]
	v_add_f64_e32 v[14:15], v[14:15], v[52:53]
	v_fma_f64 v[20:21], v[20:21], -0.5, v[18:19]
	v_add_f64_e32 v[18:19], v[18:19], v[42:43]
	v_add_f64_e32 v[42:43], v[60:61], v[44:45]
	;; [unrolled: 1-line block ×5, first 2 shown]
	v_add_f64_e64 v[80:81], v[26:27], -v[30:31]
	v_add_f64_e32 v[66:67], v[50:51], v[54:55]
	v_add_f64_e32 v[72:73], v[34:35], v[36:37]
	v_fma_f64 v[76:77], v[6:7], -0.5, v[22:23]
	ds_load_b128 v[6:9], v69 offset:1632
	v_add_f64_e64 v[60:61], v[34:35], -v[36:37]
	v_fma_f64 v[64:65], v[32:33], s[2:3], v[2:3]
	v_fma_f64 v[32:33], v[32:33], s[6:7], v[2:3]
	ds_load_b128 v[2:5], v106
	v_fma_f64 v[78:79], v[24:25], s[2:3], v[16:17]
	v_fma_f64 v[16:17], v[24:25], s[6:7], v[16:17]
	global_wb scope:SCOPE_SE
	s_wait_dscnt 0x0
	v_fma_f64 v[22:23], v[62:63], s[6:7], v[20:21]
	v_fma_f64 v[20:21], v[62:63], s[2:3], v[20:21]
	v_add_f64_e32 v[18:19], v[18:19], v[46:47]
	s_barrier_signal -1
	s_barrier_wait -1
	global_inv scope:SCOPE_SE
	v_add_f64_e32 v[44:45], v[6:7], v[50:51]
	v_add_f64_e32 v[34:35], v[8:9], v[34:35]
	v_add_f64_e64 v[50:51], v[50:51], -v[54:55]
	v_add_f64_e32 v[24:25], v[2:3], v[40:41]
	v_add_f64_e32 v[26:27], v[4:5], v[26:27]
	v_add_f64_e64 v[40:41], v[40:41], -v[28:29]
	v_fma_f64 v[2:3], v[38:39], -0.5, v[2:3]
	v_fma_f64 v[4:5], v[58:59], -0.5, v[4:5]
	v_fma_f64 v[6:7], v[66:67], -0.5, v[6:7]
	v_fma_f64 v[8:9], v[72:73], -0.5, v[8:9]
	v_fma_f64 v[62:63], v[74:75], s[6:7], v[76:77]
	v_mul_f64_e32 v[38:39], s[6:7], v[64:65]
	v_mul_f64_e32 v[58:59], 0.5, v[64:65]
	v_mul_f64_e32 v[52:53], s[6:7], v[32:33]
	v_mul_f64_e32 v[32:33], -0.5, v[32:33]
	v_fma_f64 v[64:65], v[74:75], s[2:3], v[76:77]
	v_mul_f64_e32 v[66:67], s[6:7], v[78:79]
	v_mul_f64_e32 v[74:75], 0.5, v[78:79]
	v_mul_f64_e32 v[72:73], s[6:7], v[16:17]
	v_mul_f64_e32 v[16:17], -0.5, v[16:17]
	v_add_f64_e32 v[34:35], v[34:35], v[36:37]
	v_add_f64_e32 v[36:37], v[10:11], v[12:13]
	;; [unrolled: 1-line block ×7, first 2 shown]
	v_fma_f64 v[44:45], v[80:81], s[6:7], v[2:3]
	v_fma_f64 v[48:49], v[40:41], s[2:3], v[4:5]
	;; [unrolled: 1-line block ×5, first 2 shown]
	v_fma_f64 v[38:39], v[22:23], 0.5, v[38:39]
	v_fma_f64 v[54:55], v[22:23], s[2:3], v[58:59]
	v_fma_f64 v[52:53], v[20:21], -0.5, v[52:53]
	v_fma_f64 v[32:33], v[20:21], s[2:3], v[32:33]
	v_fma_f64 v[58:59], v[60:61], s[2:3], v[6:7]
	;; [unrolled: 1-line block ×3, first 2 shown]
	v_fma_f64 v[66:67], v[62:63], 0.5, v[66:67]
	v_fma_f64 v[62:63], v[62:63], s[2:3], v[74:75]
	v_fma_f64 v[50:51], v[50:51], s[6:7], v[8:9]
	v_fma_f64 v[72:73], v[64:65], -0.5, v[72:73]
	v_fma_f64 v[64:65], v[64:65], s[2:3], v[16:17]
	v_add_f64_e32 v[2:3], v[24:25], v[18:19]
	v_add_f64_e64 v[6:7], v[24:25], -v[18:19]
	v_add_f64_e32 v[4:5], v[26:27], v[28:29]
	v_add_f64_e32 v[10:11], v[30:31], v[36:37]
	;; [unrolled: 1-line block ×3, first 2 shown]
	v_add_f64_e64 v[8:9], v[26:27], -v[28:29]
	v_add_f64_e64 v[14:15], v[30:31], -v[36:37]
	;; [unrolled: 1-line block ×3, first 2 shown]
	v_add_f64_e32 v[18:19], v[44:45], v[38:39]
	v_add_f64_e32 v[20:21], v[48:49], v[54:55]
	;; [unrolled: 1-line block ×4, first 2 shown]
	v_add_f64_e64 v[26:27], v[44:45], -v[38:39]
	v_add_f64_e64 v[28:29], v[48:49], -v[54:55]
	;; [unrolled: 1-line block ×4, first 2 shown]
	v_add_f64_e32 v[34:35], v[56:57], v[66:67]
	v_add_f64_e32 v[36:37], v[60:61], v[62:63]
	;; [unrolled: 1-line block ×4, first 2 shown]
	v_add_f64_e64 v[42:43], v[56:57], -v[66:67]
	v_add_f64_e64 v[44:45], v[60:61], -v[62:63]
	;; [unrolled: 1-line block ×4, first 2 shown]
	ds_store_b128 v69, v[2:5]
	ds_store_b128 v69, v[10:13] offset:1632
	ds_store_b128 v69, v[18:21] offset:3264
	;; [unrolled: 1-line block ×11, first 2 shown]
	global_wb scope:SCOPE_SE
	s_wait_dscnt 0x0
	s_barrier_signal -1
	s_barrier_wait -1
	global_inv scope:SCOPE_SE
	s_and_saveexec_b32 s0, vcc_lo
	s_cbranch_execz .LBB0_21
; %bb.20:
	v_lshl_add_u32 v36, v68, 4, v105
	v_dual_mov_b32 v69, v1 :: v_dual_add_nc_u32 v0, 0x66, v68
	v_add_co_u32 v37, vcc_lo, s8, v70
	ds_load_b128 v[2:5], v36
	ds_load_b128 v[6:9], v36 offset:1632
	v_lshlrev_b64_e32 v[10:11], 4, v[68:69]
	v_lshlrev_b64_e32 v[12:13], 4, v[0:1]
	v_add_nc_u32_e32 v0, 0xcc, v68
	s_wait_alu 0xfffd
	v_add_co_ci_u32_e32 v38, vcc_lo, s9, v71, vcc_lo
	s_delay_alu instid0(VALU_DEP_4) | instskip(NEXT) | instid1(VALU_DEP_3)
	v_add_co_u32 v10, vcc_lo, v37, v10
	v_lshlrev_b64_e32 v[14:15], 4, v[0:1]
	s_wait_alu 0xfffd
	s_delay_alu instid0(VALU_DEP_3)
	v_add_co_ci_u32_e32 v11, vcc_lo, v38, v11, vcc_lo
	v_add_co_u32 v12, vcc_lo, v37, v12
	v_add_nc_u32_e32 v0, 0x132, v68
	s_wait_alu 0xfffd
	v_add_co_ci_u32_e32 v13, vcc_lo, v38, v13, vcc_lo
	v_add_co_u32 v20, vcc_lo, v37, v14
	s_delay_alu instid0(VALU_DEP_3)
	v_lshlrev_b64_e32 v[18:19], 4, v[0:1]
	s_wait_dscnt 0x1
	global_store_b128 v[10:11], v[2:5], off
	s_wait_dscnt 0x0
	global_store_b128 v[12:13], v[6:9], off
	v_add_nc_u32_e32 v0, 0x198, v68
	s_wait_alu 0xfffd
	v_add_co_ci_u32_e32 v21, vcc_lo, v38, v15, vcc_lo
	ds_load_b128 v[2:5], v36 offset:3264
	ds_load_b128 v[6:9], v36 offset:4896
	;; [unrolled: 1-line block ×4, first 2 shown]
	v_lshlrev_b64_e32 v[22:23], 4, v[0:1]
	v_add_nc_u32_e32 v0, 0x1fe, v68
	v_add_co_u32 v18, vcc_lo, v37, v18
	s_wait_alu 0xfffd
	v_add_co_ci_u32_e32 v19, vcc_lo, v38, v19, vcc_lo
	s_delay_alu instid0(VALU_DEP_3) | instskip(SKIP_4) | instid1(VALU_DEP_3)
	v_lshlrev_b64_e32 v[24:25], 4, v[0:1]
	v_add_nc_u32_e32 v0, 0x264, v68
	v_add_co_u32 v22, vcc_lo, v37, v22
	s_wait_alu 0xfffd
	v_add_co_ci_u32_e32 v23, vcc_lo, v38, v23, vcc_lo
	v_lshlrev_b64_e32 v[26:27], 4, v[0:1]
	v_add_nc_u32_e32 v0, 0x2ca, v68
	v_add_co_u32 v24, vcc_lo, v37, v24
	s_wait_alu 0xfffd
	v_add_co_ci_u32_e32 v25, vcc_lo, v38, v25, vcc_lo
	s_wait_dscnt 0x3
	global_store_b128 v[20:21], v[2:5], off
	s_wait_dscnt 0x2
	global_store_b128 v[18:19], v[6:9], off
	;; [unrolled: 2-line block ×4, first 2 shown]
	v_lshlrev_b64_e32 v[10:11], 4, v[0:1]
	v_add_nc_u32_e32 v0, 0x330, v68
	v_add_co_u32 v26, vcc_lo, v37, v26
	s_wait_alu 0xfffd
	v_add_co_ci_u32_e32 v27, vcc_lo, v38, v27, vcc_lo
	s_delay_alu instid0(VALU_DEP_3) | instskip(SKIP_4) | instid1(VALU_DEP_4)
	v_lshlrev_b64_e32 v[12:13], 4, v[0:1]
	v_add_co_u32 v28, vcc_lo, v37, v10
	v_add_nc_u32_e32 v0, 0x396, v68
	s_wait_alu 0xfffd
	v_add_co_ci_u32_e32 v29, vcc_lo, v38, v11, vcc_lo
	v_add_co_u32 v32, vcc_lo, v37, v12
	ds_load_b128 v[2:5], v36 offset:9792
	ds_load_b128 v[6:9], v36 offset:11424
	s_wait_alu 0xfffd
	v_add_co_ci_u32_e32 v33, vcc_lo, v38, v13, vcc_lo
	ds_load_b128 v[10:13], v36 offset:13056
	ds_load_b128 v[14:17], v36 offset:14688
	;; [unrolled: 1-line block ×4, first 2 shown]
	v_lshlrev_b64_e32 v[30:31], 4, v[0:1]
	v_add_nc_u32_e32 v0, 0x3fc, v68
	s_delay_alu instid0(VALU_DEP_1) | instskip(SKIP_1) | instid1(VALU_DEP_4)
	v_lshlrev_b64_e32 v[34:35], 4, v[0:1]
	v_add_nc_u32_e32 v0, 0x462, v68
	v_add_co_u32 v30, vcc_lo, v37, v30
	s_wait_alu 0xfffd
	v_add_co_ci_u32_e32 v31, vcc_lo, v38, v31, vcc_lo
	s_delay_alu instid0(VALU_DEP_3) | instskip(SKIP_3) | instid1(VALU_DEP_3)
	v_lshlrev_b64_e32 v[0:1], 4, v[0:1]
	v_add_co_u32 v34, vcc_lo, v37, v34
	s_wait_alu 0xfffd
	v_add_co_ci_u32_e32 v35, vcc_lo, v38, v35, vcc_lo
	v_add_co_u32 v0, vcc_lo, v37, v0
	s_wait_alu 0xfffd
	v_add_co_ci_u32_e32 v1, vcc_lo, v38, v1, vcc_lo
	s_wait_dscnt 0x5
	global_store_b128 v[26:27], v[2:5], off
	s_wait_dscnt 0x4
	global_store_b128 v[28:29], v[6:9], off
	;; [unrolled: 2-line block ×6, first 2 shown]
.LBB0_21:
	s_nop 0
	s_sendmsg sendmsg(MSG_DEALLOC_VGPRS)
	s_endpgm
	.section	.rodata,"a",@progbits
	.p2align	6, 0x0
	.amdhsa_kernel fft_rtc_back_len1224_factors_17_3_4_6_wgs_204_tpt_102_halfLds_dp_ip_CI_unitstride_sbrr_C2R_dirReg
		.amdhsa_group_segment_fixed_size 0
		.amdhsa_private_segment_fixed_size 0
		.amdhsa_kernarg_size 88
		.amdhsa_user_sgpr_count 2
		.amdhsa_user_sgpr_dispatch_ptr 0
		.amdhsa_user_sgpr_queue_ptr 0
		.amdhsa_user_sgpr_kernarg_segment_ptr 1
		.amdhsa_user_sgpr_dispatch_id 0
		.amdhsa_user_sgpr_private_segment_size 0
		.amdhsa_wavefront_size32 1
		.amdhsa_uses_dynamic_stack 0
		.amdhsa_enable_private_segment 0
		.amdhsa_system_sgpr_workgroup_id_x 1
		.amdhsa_system_sgpr_workgroup_id_y 0
		.amdhsa_system_sgpr_workgroup_id_z 0
		.amdhsa_system_sgpr_workgroup_info 0
		.amdhsa_system_vgpr_workitem_id 0
		.amdhsa_next_free_vgpr 256
		.amdhsa_next_free_sgpr 54
		.amdhsa_reserve_vcc 1
		.amdhsa_float_round_mode_32 0
		.amdhsa_float_round_mode_16_64 0
		.amdhsa_float_denorm_mode_32 3
		.amdhsa_float_denorm_mode_16_64 3
		.amdhsa_fp16_overflow 0
		.amdhsa_workgroup_processor_mode 1
		.amdhsa_memory_ordered 1
		.amdhsa_forward_progress 0
		.amdhsa_round_robin_scheduling 0
		.amdhsa_exception_fp_ieee_invalid_op 0
		.amdhsa_exception_fp_denorm_src 0
		.amdhsa_exception_fp_ieee_div_zero 0
		.amdhsa_exception_fp_ieee_overflow 0
		.amdhsa_exception_fp_ieee_underflow 0
		.amdhsa_exception_fp_ieee_inexact 0
		.amdhsa_exception_int_div_zero 0
	.end_amdhsa_kernel
	.text
.Lfunc_end0:
	.size	fft_rtc_back_len1224_factors_17_3_4_6_wgs_204_tpt_102_halfLds_dp_ip_CI_unitstride_sbrr_C2R_dirReg, .Lfunc_end0-fft_rtc_back_len1224_factors_17_3_4_6_wgs_204_tpt_102_halfLds_dp_ip_CI_unitstride_sbrr_C2R_dirReg
                                        ; -- End function
	.section	.AMDGPU.csdata,"",@progbits
; Kernel info:
; codeLenInByte = 12200
; NumSgprs: 56
; NumVgprs: 256
; ScratchSize: 0
; MemoryBound: 0
; FloatMode: 240
; IeeeMode: 1
; LDSByteSize: 0 bytes/workgroup (compile time only)
; SGPRBlocks: 6
; VGPRBlocks: 31
; NumSGPRsForWavesPerEU: 56
; NumVGPRsForWavesPerEU: 256
; Occupancy: 5
; WaveLimiterHint : 1
; COMPUTE_PGM_RSRC2:SCRATCH_EN: 0
; COMPUTE_PGM_RSRC2:USER_SGPR: 2
; COMPUTE_PGM_RSRC2:TRAP_HANDLER: 0
; COMPUTE_PGM_RSRC2:TGID_X_EN: 1
; COMPUTE_PGM_RSRC2:TGID_Y_EN: 0
; COMPUTE_PGM_RSRC2:TGID_Z_EN: 0
; COMPUTE_PGM_RSRC2:TIDIG_COMP_CNT: 0
	.text
	.p2alignl 7, 3214868480
	.fill 96, 4, 3214868480
	.type	__hip_cuid_4e404ff107d6f55d,@object ; @__hip_cuid_4e404ff107d6f55d
	.section	.bss,"aw",@nobits
	.globl	__hip_cuid_4e404ff107d6f55d
__hip_cuid_4e404ff107d6f55d:
	.byte	0                               ; 0x0
	.size	__hip_cuid_4e404ff107d6f55d, 1

	.ident	"AMD clang version 19.0.0git (https://github.com/RadeonOpenCompute/llvm-project roc-6.4.0 25133 c7fe45cf4b819c5991fe208aaa96edf142730f1d)"
	.section	".note.GNU-stack","",@progbits
	.addrsig
	.addrsig_sym __hip_cuid_4e404ff107d6f55d
	.amdgpu_metadata
---
amdhsa.kernels:
  - .args:
      - .actual_access:  read_only
        .address_space:  global
        .offset:         0
        .size:           8
        .value_kind:     global_buffer
      - .offset:         8
        .size:           8
        .value_kind:     by_value
      - .actual_access:  read_only
        .address_space:  global
        .offset:         16
        .size:           8
        .value_kind:     global_buffer
      - .actual_access:  read_only
        .address_space:  global
        .offset:         24
        .size:           8
        .value_kind:     global_buffer
      - .offset:         32
        .size:           8
        .value_kind:     by_value
      - .actual_access:  read_only
        .address_space:  global
        .offset:         40
        .size:           8
        .value_kind:     global_buffer
      - .actual_access:  read_only
        .address_space:  global
        .offset:         48
        .size:           8
        .value_kind:     global_buffer
      - .offset:         56
        .size:           4
        .value_kind:     by_value
      - .actual_access:  read_only
        .address_space:  global
        .offset:         64
        .size:           8
        .value_kind:     global_buffer
      - .actual_access:  read_only
        .address_space:  global
        .offset:         72
        .size:           8
        .value_kind:     global_buffer
      - .address_space:  global
        .offset:         80
        .size:           8
        .value_kind:     global_buffer
    .group_segment_fixed_size: 0
    .kernarg_segment_align: 8
    .kernarg_segment_size: 88
    .language:       OpenCL C
    .language_version:
      - 2
      - 0
    .max_flat_workgroup_size: 204
    .name:           fft_rtc_back_len1224_factors_17_3_4_6_wgs_204_tpt_102_halfLds_dp_ip_CI_unitstride_sbrr_C2R_dirReg
    .private_segment_fixed_size: 0
    .sgpr_count:     56
    .sgpr_spill_count: 0
    .symbol:         fft_rtc_back_len1224_factors_17_3_4_6_wgs_204_tpt_102_halfLds_dp_ip_CI_unitstride_sbrr_C2R_dirReg.kd
    .uniform_work_group_size: 1
    .uses_dynamic_stack: false
    .vgpr_count:     256
    .vgpr_spill_count: 0
    .wavefront_size: 32
    .workgroup_processor_mode: 1
amdhsa.target:   amdgcn-amd-amdhsa--gfx1201
amdhsa.version:
  - 1
  - 2
...

	.end_amdgpu_metadata
